;; amdgpu-corpus repo=ROCm/hip-tests kind=compiled arch=gfx1250 opt=O3
	.amdgcn_target "amdgcn-amd-amdhsa--gfx1250"
	.amdhsa_code_object_version 6
	.text
	.protected	_ZN19hipPrintfStressTest22kernel_printf_conststrEj ; -- Begin function _ZN19hipPrintfStressTest22kernel_printf_conststrEj
	.globl	_ZN19hipPrintfStressTest22kernel_printf_conststrEj
	.p2align	8
	.type	_ZN19hipPrintfStressTest22kernel_printf_conststrEj,@function
_ZN19hipPrintfStressTest22kernel_printf_conststrEj: ; @_ZN19hipPrintfStressTest22kernel_printf_conststrEj
; %bb.0:
	s_load_b32 s22, s[0:1], 0x0
	s_mov_b32 s4, 0
	s_wait_kmcnt 0x0
	s_cmp_eq_u32 s22, 0
	s_cbranch_scc1 .LBB0_243
; %bb.1:
	s_load_b64 s[8:9], s[0:1], 0x58
	v_mbcnt_lo_u32_b32 v34, -1, 0
	v_mov_b32_e32 v1, 0
	s_mov_b32 s6, s4
	s_mov_b32 s7, s4
	;; [unrolled: 1-line block ×3, first 2 shown]
	v_lshlrev_b32_e32 v36, 6, v34
	s_get_pc_i64 s[2:3]
	s_add_nc_u64 s[2:3], s[2:3], .str@rel64+4
	v_mov_b64_e32 v[10:11], s[6:7]
	v_mov_b64_e32 v[2:3], 0x100000002
	;; [unrolled: 1-line block ×3, first 2 shown]
	s_get_pc_i64 s[10:11]
	s_add_nc_u64 s[10:11], s[10:11], .str.1@rel64+4
	s_cmp_lg_u64 s[2:3], 0
	v_dual_mov_b32 v39, v1 :: v_dual_mov_b32 v38, v36
	v_dual_mov_b32 v4, 33 :: v_dual_mov_b32 v5, v1
	;; [unrolled: 1-line block ×3, first 2 shown]
	s_cselect_b32 s23, -1, 0
	s_cmp_lg_u64 s[10:11], 0
	s_mov_b32 s25, s4
	s_cselect_b32 s24, -1, 0
	s_branch .LBB0_4
.LBB0_2:                                ;   in Loop: Header=BB0_4 Depth=1
	s_or_b32 exec_lo, exec_lo, s14
.LBB0_3:                                ;   in Loop: Header=BB0_4 Depth=1
	s_add_co_i32 s25, s25, 1
	s_delay_alu instid0(SALU_CYCLE_1)
	s_cmp_eq_u32 s25, s22
	s_cbranch_scc1 .LBB0_243
.LBB0_4:                                ; =>This Loop Header: Depth=1
                                        ;     Child Loop BB0_7 Depth 2
                                        ;     Child Loop BB0_15 Depth 2
	;; [unrolled: 1-line block ×9, first 2 shown]
                                        ;       Child Loop BB0_36 Depth 3
                                        ;       Child Loop BB0_43 Depth 3
	;; [unrolled: 1-line block ×11, first 2 shown]
                                        ;     Child Loop BB0_220 Depth 2
                                        ;     Child Loop BB0_228 Depth 2
	;; [unrolled: 1-line block ×5, first 2 shown]
                                        ;       Child Loop BB0_115 Depth 3
                                        ;       Child Loop BB0_122 Depth 3
	;; [unrolled: 1-line block ×11, first 2 shown]
	s_wait_xcnt 0x0
	v_readfirstlane_b32 s0, v34
	s_wait_loadcnt 0x0
	v_mov_b64_e32 v[16:17], 0
	s_delay_alu instid0(VALU_DEP_2)
	v_cmp_eq_u32_e64 s0, s0, v34
	s_and_saveexec_b32 s1, s0
	s_cbranch_execz .LBB0_10
; %bb.5:                                ;   in Loop: Header=BB0_4 Depth=1
	s_wait_kmcnt 0x0
	global_load_b64 v[14:15], v1, s[8:9] offset:24 scope:SCOPE_SYS
	s_wait_loadcnt 0x0
	global_inv scope:SCOPE_SYS
	s_clause 0x1
	global_load_b64 v[12:13], v1, s[8:9] offset:40
	global_load_b64 v[16:17], v1, s[8:9]
	s_mov_b32 s12, exec_lo
	s_wait_loadcnt 0x1
	v_and_b32_e32 v12, v12, v14
	v_and_b32_e32 v13, v13, v15
	s_delay_alu instid0(VALU_DEP_1) | instskip(SKIP_1) | instid1(VALU_DEP_1)
	v_mul_u64_e32 v[12:13], 24, v[12:13]
	s_wait_loadcnt 0x0
	v_add_nc_u64_e32 v[12:13], v[16:17], v[12:13]
	global_load_b64 v[12:13], v[12:13], off scope:SCOPE_SYS
	s_wait_xcnt 0x0
	s_wait_loadcnt 0x0
	global_atomic_cmpswap_b64 v[16:17], v1, v[12:15], s[8:9] offset:24 th:TH_ATOMIC_RETURN scope:SCOPE_SYS
	s_wait_loadcnt 0x0
	global_inv scope:SCOPE_SYS
	s_wait_xcnt 0x0
	v_cmpx_ne_u64_e64 v[16:17], v[14:15]
	s_cbranch_execz .LBB0_9
; %bb.6:                                ;   in Loop: Header=BB0_4 Depth=1
	s_mov_b32 s13, 0
.LBB0_7:                                ;   Parent Loop BB0_4 Depth=1
                                        ; =>  This Inner Loop Header: Depth=2
	s_sleep 1
	s_clause 0x1
	global_load_b64 v[12:13], v1, s[8:9] offset:40
	global_load_b64 v[18:19], v1, s[8:9]
	v_mov_b64_e32 v[14:15], v[16:17]
	s_wait_loadcnt 0x1
	s_delay_alu instid0(VALU_DEP_1) | instskip(SKIP_1) | instid1(VALU_DEP_1)
	v_and_b32_e32 v0, v12, v14
	s_wait_loadcnt 0x0
	v_mad_nc_u64_u32 v[16:17], v0, 24, v[18:19]
	s_delay_alu instid0(VALU_DEP_3) | instskip(NEXT) | instid1(VALU_DEP_1)
	v_and_b32_e32 v0, v13, v15
	v_mad_u32 v17, v0, 24, v17
	global_load_b64 v[12:13], v[16:17], off scope:SCOPE_SYS
	s_wait_xcnt 0x0
	s_wait_loadcnt 0x0
	global_atomic_cmpswap_b64 v[16:17], v1, v[12:15], s[8:9] offset:24 th:TH_ATOMIC_RETURN scope:SCOPE_SYS
	s_wait_loadcnt 0x0
	global_inv scope:SCOPE_SYS
	v_cmp_eq_u64_e32 vcc_lo, v[16:17], v[14:15]
	s_or_b32 s13, vcc_lo, s13
	s_wait_xcnt 0x0
	s_and_not1_b32 exec_lo, exec_lo, s13
	s_cbranch_execnz .LBB0_7
; %bb.8:                                ;   in Loop: Header=BB0_4 Depth=1
	s_or_b32 exec_lo, exec_lo, s13
.LBB0_9:                                ;   in Loop: Header=BB0_4 Depth=1
	s_delay_alu instid0(SALU_CYCLE_1)
	s_or_b32 exec_lo, exec_lo, s12
.LBB0_10:                               ;   in Loop: Header=BB0_4 Depth=1
	s_delay_alu instid0(SALU_CYCLE_1)
	s_or_b32 exec_lo, exec_lo, s1
	s_wait_kmcnt 0x0
	s_clause 0x1
	global_load_b64 v[18:19], v1, s[8:9] offset:40
	global_load_b128 v[12:15], v1, s[8:9]
	v_readfirstlane_b32 s12, v16
	v_readfirstlane_b32 s13, v17
	s_mov_b32 s1, exec_lo
	s_wait_loadcnt 0x1
	v_and_b32_e32 v18, s12, v18
	v_and_b32_e32 v19, s13, v19
	s_delay_alu instid0(VALU_DEP_1) | instskip(SKIP_1) | instid1(VALU_DEP_1)
	v_mul_u64_e32 v[16:17], 24, v[18:19]
	s_wait_loadcnt 0x0
	v_add_nc_u64_e32 v[16:17], v[12:13], v[16:17]
	s_wait_xcnt 0x0
	s_and_saveexec_b32 s14, s0
	s_cbranch_execz .LBB0_12
; %bb.11:                               ;   in Loop: Header=BB0_4 Depth=1
	v_mov_b32_e32 v0, s1
	global_store_b128 v[16:17], v[0:3], off offset:8
.LBB0_12:                               ;   in Loop: Header=BB0_4 Depth=1
	s_wait_xcnt 0x0
	s_or_b32 exec_lo, exec_lo, s14
	v_lshlrev_b64_e32 v[18:19], 12, v[18:19]
	s_delay_alu instid0(VALU_DEP_1) | instskip(NEXT) | instid1(VALU_DEP_1)
	v_add_nc_u64_e32 v[18:19], v[14:15], v[18:19]
	v_readfirstlane_b32 s14, v18
	s_delay_alu instid0(VALU_DEP_2)
	v_readfirstlane_b32 s15, v19
	s_clause 0x3
	global_store_b128 v36, v[4:7], s[14:15]
	global_store_b128 v36, v[8:11], s[14:15] offset:16
	global_store_b128 v36, v[8:11], s[14:15] offset:32
	;; [unrolled: 1-line block ×3, first 2 shown]
	s_wait_xcnt 0x0
	s_and_saveexec_b32 s1, s0
	s_cbranch_execz .LBB0_20
; %bb.13:                               ;   in Loop: Header=BB0_4 Depth=1
	s_clause 0x1
	global_load_b64 v[24:25], v1, s[8:9] offset:32 scope:SCOPE_SYS
	global_load_b64 v[14:15], v1, s[8:9] offset:40
	s_mov_b32 s14, exec_lo
	v_dual_mov_b32 v22, s12 :: v_dual_mov_b32 v23, s13
	s_wait_loadcnt 0x0
	v_and_b32_e32 v15, s13, v15
	v_and_b32_e32 v14, s12, v14
	s_delay_alu instid0(VALU_DEP_1) | instskip(NEXT) | instid1(VALU_DEP_1)
	v_mul_u64_e32 v[14:15], 24, v[14:15]
	v_add_nc_u64_e32 v[20:21], v[12:13], v[14:15]
	global_store_b64 v[20:21], v[24:25], off
	global_wb scope:SCOPE_SYS
	s_wait_storecnt 0x0
	s_wait_xcnt 0x0
	global_atomic_cmpswap_b64 v[14:15], v1, v[22:25], s[8:9] offset:32 th:TH_ATOMIC_RETURN scope:SCOPE_SYS
	s_wait_loadcnt 0x0
	v_cmpx_ne_u64_e64 v[14:15], v[24:25]
	s_cbranch_execz .LBB0_16
; %bb.14:                               ;   in Loop: Header=BB0_4 Depth=1
	s_mov_b32 s15, 0
.LBB0_15:                               ;   Parent Loop BB0_4 Depth=1
                                        ; =>  This Inner Loop Header: Depth=2
	v_dual_mov_b32 v12, s12 :: v_dual_mov_b32 v13, s13
	s_sleep 1
	global_store_b64 v[20:21], v[14:15], off
	global_wb scope:SCOPE_SYS
	s_wait_storecnt 0x0
	s_wait_xcnt 0x0
	global_atomic_cmpswap_b64 v[12:13], v1, v[12:15], s[8:9] offset:32 th:TH_ATOMIC_RETURN scope:SCOPE_SYS
	s_wait_loadcnt 0x0
	v_cmp_eq_u64_e32 vcc_lo, v[12:13], v[14:15]
	v_mov_b64_e32 v[14:15], v[12:13]
	s_or_b32 s15, vcc_lo, s15
	s_delay_alu instid0(SALU_CYCLE_1)
	s_and_not1_b32 exec_lo, exec_lo, s15
	s_cbranch_execnz .LBB0_15
.LBB0_16:                               ;   in Loop: Header=BB0_4 Depth=1
	s_or_b32 exec_lo, exec_lo, s14
	global_load_b64 v[12:13], v1, s[8:9] offset:16
	s_mov_b32 s15, exec_lo
	s_mov_b32 s14, exec_lo
	v_mbcnt_lo_u32_b32 v0, s15, 0
	s_wait_xcnt 0x0
	s_delay_alu instid0(VALU_DEP_1)
	v_cmpx_eq_u32_e32 0, v0
	s_cbranch_execz .LBB0_18
; %bb.17:                               ;   in Loop: Header=BB0_4 Depth=1
	s_bcnt1_i32_b32 s15, s15
	s_delay_alu instid0(SALU_CYCLE_1)
	v_mov_b32_e32 v0, s15
	global_wb scope:SCOPE_SYS
	s_wait_loadcnt 0x0
	s_wait_storecnt 0x0
	global_atomic_add_u64 v[12:13], v[0:1], off offset:8 scope:SCOPE_SYS
.LBB0_18:                               ;   in Loop: Header=BB0_4 Depth=1
	s_wait_xcnt 0x0
	s_or_b32 exec_lo, exec_lo, s14
	s_wait_loadcnt 0x0
	global_load_b64 v[14:15], v[12:13], off offset:16
	s_wait_loadcnt 0x0
	v_cmp_eq_u64_e32 vcc_lo, 0, v[14:15]
	s_cbranch_vccnz .LBB0_20
; %bb.19:                               ;   in Loop: Header=BB0_4 Depth=1
	global_load_b32 v0, v[12:13], off offset:24
	s_wait_loadcnt 0x0
	v_readfirstlane_b32 s14, v0
	global_wb scope:SCOPE_SYS
	s_wait_storecnt 0x0
	s_wait_xcnt 0x0
	global_store_b64 v[14:15], v[0:1], off scope:SCOPE_SYS
	s_and_b32 m0, s14, 0xffffff
	s_sendmsg sendmsg(MSG_INTERRUPT)
.LBB0_20:                               ;   in Loop: Header=BB0_4 Depth=1
	s_wait_xcnt 0x0
	s_or_b32 exec_lo, exec_lo, s1
	v_add_nc_u64_e32 v[12:13], v[18:19], v[38:39]
	s_branch .LBB0_24
.LBB0_21:                               ;   in Loop: Header=BB0_24 Depth=2
	s_wait_xcnt 0x0
	s_or_b32 exec_lo, exec_lo, s1
	s_delay_alu instid0(VALU_DEP_1)
	v_readfirstlane_b32 s1, v0
	s_cmp_eq_u32 s1, 0
	s_cbranch_scc1 .LBB0_23
; %bb.22:                               ;   in Loop: Header=BB0_24 Depth=2
	s_sleep 1
	s_cbranch_execnz .LBB0_24
	s_branch .LBB0_26
.LBB0_23:                               ;   in Loop: Header=BB0_4 Depth=1
	s_branch .LBB0_26
.LBB0_24:                               ;   Parent Loop BB0_4 Depth=1
                                        ; =>  This Inner Loop Header: Depth=2
	v_mov_b32_e32 v0, 1
	s_and_saveexec_b32 s1, s0
	s_cbranch_execz .LBB0_21
; %bb.25:                               ;   in Loop: Header=BB0_24 Depth=2
	global_load_b32 v0, v[16:17], off offset:20 scope:SCOPE_SYS
	s_wait_loadcnt 0x0
	global_inv scope:SCOPE_SYS
	v_and_b32_e32 v0, 1, v0
	s_branch .LBB0_21
.LBB0_26:                               ;   in Loop: Header=BB0_4 Depth=1
	global_load_b64 v[16:17], v[12:13], off
	s_wait_xcnt 0x0
	s_and_saveexec_b32 s14, s0
	s_cbranch_execz .LBB0_30
; %bb.27:                               ;   in Loop: Header=BB0_4 Depth=1
	s_clause 0x2
	global_load_b64 v[12:13], v1, s[8:9] offset:40
	global_load_b64 v[22:23], v1, s[8:9] offset:24 scope:SCOPE_SYS
	global_load_b64 v[14:15], v1, s[8:9]
	s_wait_loadcnt 0x2
	v_readfirstlane_b32 s16, v12
	v_readfirstlane_b32 s17, v13
	s_add_nc_u64 s[0:1], s[16:17], 1
	s_delay_alu instid0(SALU_CYCLE_1) | instskip(NEXT) | instid1(SALU_CYCLE_1)
	s_add_nc_u64 s[12:13], s[0:1], s[12:13]
	s_cmp_eq_u64 s[12:13], 0
	s_cselect_b32 s1, s1, s13
	s_cselect_b32 s0, s0, s12
	s_delay_alu instid0(SALU_CYCLE_1) | instskip(SKIP_1) | instid1(SALU_CYCLE_1)
	v_dual_mov_b32 v21, s1 :: v_dual_mov_b32 v20, s0
	s_and_b64 s[12:13], s[0:1], s[16:17]
	s_mul_u64 s[12:13], s[12:13], 24
	s_wait_loadcnt 0x0
	v_add_nc_u64_e32 v[18:19], s[12:13], v[14:15]
	global_store_b64 v[18:19], v[22:23], off
	global_wb scope:SCOPE_SYS
	s_wait_storecnt 0x0
	s_wait_xcnt 0x0
	global_atomic_cmpswap_b64 v[14:15], v1, v[20:23], s[8:9] offset:24 th:TH_ATOMIC_RETURN scope:SCOPE_SYS
	s_wait_loadcnt 0x0
	v_cmp_ne_u64_e32 vcc_lo, v[14:15], v[22:23]
	s_and_b32 exec_lo, exec_lo, vcc_lo
	s_cbranch_execz .LBB0_30
; %bb.28:                               ;   in Loop: Header=BB0_4 Depth=1
	s_mov_b32 s12, 0
.LBB0_29:                               ;   Parent Loop BB0_4 Depth=1
                                        ; =>  This Inner Loop Header: Depth=2
	v_dual_mov_b32 v12, s0 :: v_dual_mov_b32 v13, s1
	s_sleep 1
	global_store_b64 v[18:19], v[14:15], off
	global_wb scope:SCOPE_SYS
	s_wait_storecnt 0x0
	s_wait_xcnt 0x0
	global_atomic_cmpswap_b64 v[12:13], v1, v[12:15], s[8:9] offset:24 th:TH_ATOMIC_RETURN scope:SCOPE_SYS
	s_wait_loadcnt 0x0
	v_cmp_eq_u64_e32 vcc_lo, v[12:13], v[14:15]
	v_mov_b64_e32 v[14:15], v[12:13]
	s_or_b32 s12, vcc_lo, s12
	s_delay_alu instid0(SALU_CYCLE_1)
	s_and_not1_b32 exec_lo, exec_lo, s12
	s_cbranch_execnz .LBB0_29
.LBB0_30:                               ;   in Loop: Header=BB0_4 Depth=1
	s_or_b32 exec_lo, exec_lo, s14
	s_delay_alu instid0(SALU_CYCLE_1)
	s_and_b32 vcc_lo, exec_lo, s23
	s_cbranch_vccz .LBB0_188
; %bb.31:                               ;   in Loop: Header=BB0_4 Depth=1
	s_wait_loadcnt 0x0
	v_dual_mov_b32 v13, v17 :: v_dual_bitop2_b32 v40, 2, v16 bitop3:0x40
	v_and_b32_e32 v12, -3, v16
	s_mov_b64 s[12:13], 3
	s_mov_b64 s[14:15], s[2:3]
	s_branch .LBB0_33
.LBB0_32:                               ;   in Loop: Header=BB0_33 Depth=2
	s_or_b32 exec_lo, exec_lo, s20
	s_sub_nc_u64 s[12:13], s[12:13], s[16:17]
	s_add_nc_u64 s[14:15], s[14:15], s[16:17]
	s_cmp_lg_u64 s[12:13], 0
	s_cbranch_scc0 .LBB0_108
.LBB0_33:                               ;   Parent Loop BB0_4 Depth=1
                                        ; =>  This Loop Header: Depth=2
                                        ;       Child Loop BB0_36 Depth 3
                                        ;       Child Loop BB0_43 Depth 3
	;; [unrolled: 1-line block ×11, first 2 shown]
	v_min_u64 v[14:15], s[12:13], 56
	v_cmp_gt_u64_e64 s0, s[12:13], 7
	s_and_b32 vcc_lo, exec_lo, s0
	v_readfirstlane_b32 s16, v14
	v_readfirstlane_b32 s17, v15
	s_cbranch_vccnz .LBB0_38
; %bb.34:                               ;   in Loop: Header=BB0_33 Depth=2
	v_mov_b64_e32 v[14:15], 0
	s_cmp_eq_u64 s[12:13], 0
	s_cbranch_scc1 .LBB0_37
; %bb.35:                               ;   in Loop: Header=BB0_33 Depth=2
	s_mov_b64 s[0:1], 0
	s_mov_b64 s[18:19], 0
.LBB0_36:                               ;   Parent Loop BB0_4 Depth=1
                                        ;     Parent Loop BB0_33 Depth=2
                                        ; =>    This Inner Loop Header: Depth=3
	s_wait_xcnt 0x0
	s_add_nc_u64 s[20:21], s[14:15], s[18:19]
	s_add_nc_u64 s[18:19], s[18:19], 1
	global_load_u8 v0, v1, s[20:21]
	s_cmp_lg_u32 s16, s18
	s_wait_loadcnt 0x0
	v_and_b32_e32 v0, 0xffff, v0
	s_delay_alu instid0(VALU_DEP_1) | instskip(SKIP_1) | instid1(VALU_DEP_1)
	v_lshlrev_b64_e32 v[18:19], s0, v[0:1]
	s_add_nc_u64 s[0:1], s[0:1], 8
	v_or_b32_e32 v14, v18, v14
	s_delay_alu instid0(VALU_DEP_2)
	v_or_b32_e32 v15, v19, v15
	s_cbranch_scc1 .LBB0_36
.LBB0_37:                               ;   in Loop: Header=BB0_33 Depth=2
	s_mov_b64 s[0:1], s[14:15]
	s_mov_b32 s26, 0
	s_cbranch_execz .LBB0_39
	s_branch .LBB0_40
.LBB0_38:                               ;   in Loop: Header=BB0_33 Depth=2
	s_add_nc_u64 s[0:1], s[14:15], 8
	s_mov_b32 s26, 0
.LBB0_39:                               ;   in Loop: Header=BB0_33 Depth=2
	global_load_b64 v[14:15], v1, s[14:15]
	s_add_co_i32 s26, s16, -8
.LBB0_40:                               ;   in Loop: Header=BB0_33 Depth=2
	s_delay_alu instid0(SALU_CYCLE_1)
	s_cmp_gt_u32 s26, 7
	s_cbranch_scc1 .LBB0_45
; %bb.41:                               ;   in Loop: Header=BB0_33 Depth=2
	v_mov_b64_e32 v[18:19], 0
	s_cmp_eq_u32 s26, 0
	s_cbranch_scc1 .LBB0_44
; %bb.42:                               ;   in Loop: Header=BB0_33 Depth=2
	s_mov_b64 s[18:19], 0
	s_wait_xcnt 0x0
	s_mov_b64 s[20:21], 0
.LBB0_43:                               ;   Parent Loop BB0_4 Depth=1
                                        ;     Parent Loop BB0_33 Depth=2
                                        ; =>    This Inner Loop Header: Depth=3
	s_wait_xcnt 0x0
	s_add_nc_u64 s[28:29], s[0:1], s[20:21]
	s_add_nc_u64 s[20:21], s[20:21], 1
	global_load_u8 v0, v1, s[28:29]
	s_cmp_lg_u32 s26, s20
	s_wait_loadcnt 0x0
	v_and_b32_e32 v0, 0xffff, v0
	s_delay_alu instid0(VALU_DEP_1) | instskip(SKIP_1) | instid1(VALU_DEP_1)
	v_lshlrev_b64_e32 v[20:21], s18, v[0:1]
	s_add_nc_u64 s[18:19], s[18:19], 8
	v_or_b32_e32 v18, v20, v18
	s_delay_alu instid0(VALU_DEP_2)
	v_or_b32_e32 v19, v21, v19
	s_cbranch_scc1 .LBB0_43
.LBB0_44:                               ;   in Loop: Header=BB0_33 Depth=2
	s_wait_xcnt 0x0
	s_mov_b64 s[18:19], s[0:1]
	s_mov_b32 s27, 0
	s_cbranch_execz .LBB0_46
	s_branch .LBB0_47
.LBB0_45:                               ;   in Loop: Header=BB0_33 Depth=2
	s_add_nc_u64 s[18:19], s[0:1], 8
	s_wait_xcnt 0x0
                                        ; implicit-def: $vgpr18_vgpr19
	s_mov_b32 s27, 0
.LBB0_46:                               ;   in Loop: Header=BB0_33 Depth=2
	global_load_b64 v[18:19], v1, s[0:1]
	s_add_co_i32 s27, s26, -8
.LBB0_47:                               ;   in Loop: Header=BB0_33 Depth=2
	s_delay_alu instid0(SALU_CYCLE_1)
	s_cmp_gt_u32 s27, 7
	s_cbranch_scc1 .LBB0_52
; %bb.48:                               ;   in Loop: Header=BB0_33 Depth=2
	v_mov_b64_e32 v[20:21], 0
	s_cmp_eq_u32 s27, 0
	s_cbranch_scc1 .LBB0_51
; %bb.49:                               ;   in Loop: Header=BB0_33 Depth=2
	s_wait_xcnt 0x0
	s_mov_b64 s[0:1], 0
	s_mov_b64 s[20:21], 0
.LBB0_50:                               ;   Parent Loop BB0_4 Depth=1
                                        ;     Parent Loop BB0_33 Depth=2
                                        ; =>    This Inner Loop Header: Depth=3
	s_wait_xcnt 0x0
	s_add_nc_u64 s[28:29], s[18:19], s[20:21]
	s_add_nc_u64 s[20:21], s[20:21], 1
	global_load_u8 v0, v1, s[28:29]
	s_cmp_lg_u32 s27, s20
	s_wait_loadcnt 0x0
	v_and_b32_e32 v0, 0xffff, v0
	s_delay_alu instid0(VALU_DEP_1) | instskip(SKIP_1) | instid1(VALU_DEP_1)
	v_lshlrev_b64_e32 v[22:23], s0, v[0:1]
	s_add_nc_u64 s[0:1], s[0:1], 8
	v_or_b32_e32 v20, v22, v20
	s_delay_alu instid0(VALU_DEP_2)
	v_or_b32_e32 v21, v23, v21
	s_cbranch_scc1 .LBB0_50
.LBB0_51:                               ;   in Loop: Header=BB0_33 Depth=2
	s_wait_xcnt 0x0
	s_mov_b64 s[0:1], s[18:19]
	s_mov_b32 s26, 0
	s_cbranch_execz .LBB0_53
	s_branch .LBB0_54
.LBB0_52:                               ;   in Loop: Header=BB0_33 Depth=2
	s_wait_xcnt 0x0
	s_add_nc_u64 s[0:1], s[18:19], 8
	s_mov_b32 s26, 0
.LBB0_53:                               ;   in Loop: Header=BB0_33 Depth=2
	global_load_b64 v[20:21], v1, s[18:19]
	s_add_co_i32 s26, s27, -8
.LBB0_54:                               ;   in Loop: Header=BB0_33 Depth=2
	s_delay_alu instid0(SALU_CYCLE_1)
	s_cmp_gt_u32 s26, 7
	s_cbranch_scc1 .LBB0_59
; %bb.55:                               ;   in Loop: Header=BB0_33 Depth=2
	v_mov_b64_e32 v[22:23], 0
	s_cmp_eq_u32 s26, 0
	s_cbranch_scc1 .LBB0_58
; %bb.56:                               ;   in Loop: Header=BB0_33 Depth=2
	s_wait_xcnt 0x0
	s_mov_b64 s[18:19], 0
	s_mov_b64 s[20:21], 0
.LBB0_57:                               ;   Parent Loop BB0_4 Depth=1
                                        ;     Parent Loop BB0_33 Depth=2
                                        ; =>    This Inner Loop Header: Depth=3
	s_wait_xcnt 0x0
	s_add_nc_u64 s[28:29], s[0:1], s[20:21]
	s_add_nc_u64 s[20:21], s[20:21], 1
	global_load_u8 v0, v1, s[28:29]
	s_cmp_lg_u32 s26, s20
	s_wait_loadcnt 0x0
	v_and_b32_e32 v0, 0xffff, v0
	s_delay_alu instid0(VALU_DEP_1) | instskip(SKIP_1) | instid1(VALU_DEP_1)
	v_lshlrev_b64_e32 v[24:25], s18, v[0:1]
	s_add_nc_u64 s[18:19], s[18:19], 8
	v_or_b32_e32 v22, v24, v22
	s_delay_alu instid0(VALU_DEP_2)
	v_or_b32_e32 v23, v25, v23
	s_cbranch_scc1 .LBB0_57
.LBB0_58:                               ;   in Loop: Header=BB0_33 Depth=2
	s_wait_xcnt 0x0
	s_mov_b64 s[18:19], s[0:1]
	s_mov_b32 s27, 0
	s_cbranch_execz .LBB0_60
	s_branch .LBB0_61
.LBB0_59:                               ;   in Loop: Header=BB0_33 Depth=2
	s_wait_xcnt 0x0
	s_add_nc_u64 s[18:19], s[0:1], 8
                                        ; implicit-def: $vgpr22_vgpr23
	s_mov_b32 s27, 0
.LBB0_60:                               ;   in Loop: Header=BB0_33 Depth=2
	global_load_b64 v[22:23], v1, s[0:1]
	s_add_co_i32 s27, s26, -8
.LBB0_61:                               ;   in Loop: Header=BB0_33 Depth=2
	s_delay_alu instid0(SALU_CYCLE_1)
	s_cmp_gt_u32 s27, 7
	s_cbranch_scc1 .LBB0_66
; %bb.62:                               ;   in Loop: Header=BB0_33 Depth=2
	v_mov_b64_e32 v[24:25], 0
	s_cmp_eq_u32 s27, 0
	s_cbranch_scc1 .LBB0_65
; %bb.63:                               ;   in Loop: Header=BB0_33 Depth=2
	s_wait_xcnt 0x0
	s_mov_b64 s[0:1], 0
	s_mov_b64 s[20:21], 0
.LBB0_64:                               ;   Parent Loop BB0_4 Depth=1
                                        ;     Parent Loop BB0_33 Depth=2
                                        ; =>    This Inner Loop Header: Depth=3
	s_wait_xcnt 0x0
	s_add_nc_u64 s[28:29], s[18:19], s[20:21]
	s_add_nc_u64 s[20:21], s[20:21], 1
	global_load_u8 v0, v1, s[28:29]
	s_cmp_lg_u32 s27, s20
	s_wait_loadcnt 0x0
	v_and_b32_e32 v0, 0xffff, v0
	s_delay_alu instid0(VALU_DEP_1) | instskip(SKIP_1) | instid1(VALU_DEP_1)
	v_lshlrev_b64_e32 v[26:27], s0, v[0:1]
	s_add_nc_u64 s[0:1], s[0:1], 8
	v_or_b32_e32 v24, v26, v24
	s_delay_alu instid0(VALU_DEP_2)
	v_or_b32_e32 v25, v27, v25
	s_cbranch_scc1 .LBB0_64
.LBB0_65:                               ;   in Loop: Header=BB0_33 Depth=2
	s_wait_xcnt 0x0
	s_mov_b64 s[0:1], s[18:19]
	s_mov_b32 s26, 0
	s_cbranch_execz .LBB0_67
	s_branch .LBB0_68
.LBB0_66:                               ;   in Loop: Header=BB0_33 Depth=2
	s_wait_xcnt 0x0
	s_add_nc_u64 s[0:1], s[18:19], 8
	s_mov_b32 s26, 0
.LBB0_67:                               ;   in Loop: Header=BB0_33 Depth=2
	global_load_b64 v[24:25], v1, s[18:19]
	s_add_co_i32 s26, s27, -8
.LBB0_68:                               ;   in Loop: Header=BB0_33 Depth=2
	s_delay_alu instid0(SALU_CYCLE_1)
	s_cmp_gt_u32 s26, 7
	s_cbranch_scc1 .LBB0_73
; %bb.69:                               ;   in Loop: Header=BB0_33 Depth=2
	v_mov_b64_e32 v[26:27], 0
	s_cmp_eq_u32 s26, 0
	s_cbranch_scc1 .LBB0_72
; %bb.70:                               ;   in Loop: Header=BB0_33 Depth=2
	s_wait_xcnt 0x0
	s_mov_b64 s[18:19], 0
	s_mov_b64 s[20:21], 0
.LBB0_71:                               ;   Parent Loop BB0_4 Depth=1
                                        ;     Parent Loop BB0_33 Depth=2
                                        ; =>    This Inner Loop Header: Depth=3
	s_wait_xcnt 0x0
	s_add_nc_u64 s[28:29], s[0:1], s[20:21]
	s_add_nc_u64 s[20:21], s[20:21], 1
	global_load_u8 v0, v1, s[28:29]
	s_cmp_lg_u32 s26, s20
	s_wait_loadcnt 0x0
	v_and_b32_e32 v0, 0xffff, v0
	s_delay_alu instid0(VALU_DEP_1) | instskip(SKIP_1) | instid1(VALU_DEP_1)
	v_lshlrev_b64_e32 v[28:29], s18, v[0:1]
	s_add_nc_u64 s[18:19], s[18:19], 8
	v_or_b32_e32 v26, v28, v26
	s_delay_alu instid0(VALU_DEP_2)
	v_or_b32_e32 v27, v29, v27
	s_cbranch_scc1 .LBB0_71
.LBB0_72:                               ;   in Loop: Header=BB0_33 Depth=2
	s_wait_xcnt 0x0
	s_mov_b64 s[18:19], s[0:1]
	s_mov_b32 s27, 0
	s_cbranch_execz .LBB0_74
	s_branch .LBB0_75
.LBB0_73:                               ;   in Loop: Header=BB0_33 Depth=2
	s_wait_xcnt 0x0
	s_add_nc_u64 s[18:19], s[0:1], 8
                                        ; implicit-def: $vgpr26_vgpr27
	s_mov_b32 s27, 0
.LBB0_74:                               ;   in Loop: Header=BB0_33 Depth=2
	global_load_b64 v[26:27], v1, s[0:1]
	s_add_co_i32 s27, s26, -8
.LBB0_75:                               ;   in Loop: Header=BB0_33 Depth=2
	s_delay_alu instid0(SALU_CYCLE_1)
	s_cmp_gt_u32 s27, 7
	s_cbranch_scc1 .LBB0_80
; %bb.76:                               ;   in Loop: Header=BB0_33 Depth=2
	v_mov_b64_e32 v[28:29], 0
	s_cmp_eq_u32 s27, 0
	s_cbranch_scc1 .LBB0_79
; %bb.77:                               ;   in Loop: Header=BB0_33 Depth=2
	s_wait_xcnt 0x0
	s_mov_b64 s[0:1], 0
	s_mov_b64 s[20:21], s[18:19]
.LBB0_78:                               ;   Parent Loop BB0_4 Depth=1
                                        ;     Parent Loop BB0_33 Depth=2
                                        ; =>    This Inner Loop Header: Depth=3
	global_load_u8 v0, v1, s[20:21]
	s_add_co_i32 s27, s27, -1
	s_wait_xcnt 0x0
	s_add_nc_u64 s[20:21], s[20:21], 1
	s_cmp_lg_u32 s27, 0
	s_wait_loadcnt 0x0
	v_and_b32_e32 v0, 0xffff, v0
	s_delay_alu instid0(VALU_DEP_1) | instskip(SKIP_1) | instid1(VALU_DEP_1)
	v_lshlrev_b64_e32 v[30:31], s0, v[0:1]
	s_add_nc_u64 s[0:1], s[0:1], 8
	v_or_b32_e32 v28, v30, v28
	s_delay_alu instid0(VALU_DEP_2)
	v_or_b32_e32 v29, v31, v29
	s_cbranch_scc1 .LBB0_78
.LBB0_79:                               ;   in Loop: Header=BB0_33 Depth=2
	s_wait_xcnt 0x0
	s_cbranch_execz .LBB0_81
	s_branch .LBB0_82
.LBB0_80:                               ;   in Loop: Header=BB0_33 Depth=2
	s_wait_xcnt 0x0
.LBB0_81:                               ;   in Loop: Header=BB0_33 Depth=2
	global_load_b64 v[28:29], v1, s[18:19]
.LBB0_82:                               ;   in Loop: Header=BB0_33 Depth=2
	v_readfirstlane_b32 s0, v34
	v_mov_b64_e32 v[42:43], 0
	s_delay_alu instid0(VALU_DEP_2)
	v_cmp_eq_u32_e64 s0, s0, v34
	s_wait_xcnt 0x0
	s_and_saveexec_b32 s1, s0
	s_cbranch_execz .LBB0_88
; %bb.83:                               ;   in Loop: Header=BB0_33 Depth=2
	global_load_b64 v[32:33], v1, s[8:9] offset:24 scope:SCOPE_SYS
	s_wait_loadcnt 0x0
	global_inv scope:SCOPE_SYS
	s_clause 0x1
	global_load_b64 v[30:31], v1, s[8:9] offset:40
	global_load_b64 v[42:43], v1, s[8:9]
	s_mov_b32 s18, exec_lo
	s_wait_loadcnt 0x1
	v_and_b32_e32 v30, v30, v32
	v_and_b32_e32 v31, v31, v33
	s_delay_alu instid0(VALU_DEP_1) | instskip(SKIP_1) | instid1(VALU_DEP_1)
	v_mul_u64_e32 v[30:31], 24, v[30:31]
	s_wait_loadcnt 0x0
	v_add_nc_u64_e32 v[30:31], v[42:43], v[30:31]
	global_load_b64 v[30:31], v[30:31], off scope:SCOPE_SYS
	s_wait_xcnt 0x0
	s_wait_loadcnt 0x0
	global_atomic_cmpswap_b64 v[42:43], v1, v[30:33], s[8:9] offset:24 th:TH_ATOMIC_RETURN scope:SCOPE_SYS
	s_wait_loadcnt 0x0
	global_inv scope:SCOPE_SYS
	s_wait_xcnt 0x0
	v_cmpx_ne_u64_e64 v[42:43], v[32:33]
	s_cbranch_execz .LBB0_87
; %bb.84:                               ;   in Loop: Header=BB0_33 Depth=2
	s_mov_b32 s19, 0
.LBB0_85:                               ;   Parent Loop BB0_4 Depth=1
                                        ;     Parent Loop BB0_33 Depth=2
                                        ; =>    This Inner Loop Header: Depth=3
	s_sleep 1
	s_clause 0x1
	global_load_b64 v[30:31], v1, s[8:9] offset:40
	global_load_b64 v[44:45], v1, s[8:9]
	v_mov_b64_e32 v[32:33], v[42:43]
	s_wait_loadcnt 0x1
	s_delay_alu instid0(VALU_DEP_1) | instskip(SKIP_1) | instid1(VALU_DEP_1)
	v_and_b32_e32 v0, v30, v32
	s_wait_loadcnt 0x0
	v_mad_nc_u64_u32 v[42:43], v0, 24, v[44:45]
	s_delay_alu instid0(VALU_DEP_3) | instskip(NEXT) | instid1(VALU_DEP_1)
	v_and_b32_e32 v0, v31, v33
	v_mad_u32 v43, v0, 24, v43
	global_load_b64 v[30:31], v[42:43], off scope:SCOPE_SYS
	s_wait_xcnt 0x0
	s_wait_loadcnt 0x0
	global_atomic_cmpswap_b64 v[42:43], v1, v[30:33], s[8:9] offset:24 th:TH_ATOMIC_RETURN scope:SCOPE_SYS
	s_wait_loadcnt 0x0
	global_inv scope:SCOPE_SYS
	v_cmp_eq_u64_e32 vcc_lo, v[42:43], v[32:33]
	s_or_b32 s19, vcc_lo, s19
	s_wait_xcnt 0x0
	s_and_not1_b32 exec_lo, exec_lo, s19
	s_cbranch_execnz .LBB0_85
; %bb.86:                               ;   in Loop: Header=BB0_33 Depth=2
	s_or_b32 exec_lo, exec_lo, s19
.LBB0_87:                               ;   in Loop: Header=BB0_33 Depth=2
	s_delay_alu instid0(SALU_CYCLE_1)
	s_or_b32 exec_lo, exec_lo, s18
.LBB0_88:                               ;   in Loop: Header=BB0_33 Depth=2
	s_delay_alu instid0(SALU_CYCLE_1)
	s_or_b32 exec_lo, exec_lo, s1
	s_clause 0x1
	global_load_b64 v[44:45], v1, s[8:9] offset:40
	global_load_b128 v[30:33], v1, s[8:9]
	v_readfirstlane_b32 s18, v42
	v_readfirstlane_b32 s19, v43
	s_mov_b32 s1, exec_lo
	s_wait_loadcnt 0x1
	v_and_b32_e32 v44, s18, v44
	v_and_b32_e32 v45, s19, v45
	s_delay_alu instid0(VALU_DEP_1) | instskip(SKIP_1) | instid1(VALU_DEP_1)
	v_mul_u64_e32 v[42:43], 24, v[44:45]
	s_wait_loadcnt 0x0
	v_add_nc_u64_e32 v[42:43], v[30:31], v[42:43]
	s_wait_xcnt 0x0
	s_and_saveexec_b32 s20, s0
	s_cbranch_execz .LBB0_90
; %bb.89:                               ;   in Loop: Header=BB0_33 Depth=2
	v_mov_b32_e32 v0, s1
	global_store_b128 v[42:43], v[0:3], off offset:8
.LBB0_90:                               ;   in Loop: Header=BB0_33 Depth=2
	s_wait_xcnt 0x0
	s_or_b32 exec_lo, exec_lo, s20
	v_cmp_lt_u64_e64 vcc_lo, s[12:13], 57
	v_lshlrev_b64_e32 v[44:45], 12, v[44:45]
	v_and_b32_e32 v12, 0xffffff1f, v12
	s_lshl_b32 s1, s16, 2
	s_delay_alu instid0(SALU_CYCLE_1) | instskip(SKIP_1) | instid1(VALU_DEP_3)
	s_add_co_i32 s1, s1, 28
	v_cndmask_b32_e32 v0, 0, v40, vcc_lo
	v_add_nc_u64_e32 v[32:33], v[32:33], v[44:45]
	s_delay_alu instid0(VALU_DEP_2) | instskip(NEXT) | instid1(VALU_DEP_2)
	v_or_b32_e32 v0, v12, v0
	v_readfirstlane_b32 s20, v32
	s_delay_alu instid0(VALU_DEP_3) | instskip(NEXT) | instid1(VALU_DEP_3)
	v_readfirstlane_b32 s21, v33
	v_and_or_b32 v12, 0x1e0, s1, v0
	s_clause 0x3
	global_store_b128 v36, v[12:15], s[20:21]
	global_store_b128 v36, v[18:21], s[20:21] offset:16
	global_store_b128 v36, v[22:25], s[20:21] offset:32
	global_store_b128 v36, v[26:29], s[20:21] offset:48
	s_wait_xcnt 0x0
	s_and_saveexec_b32 s1, s0
	s_cbranch_execz .LBB0_98
; %bb.91:                               ;   in Loop: Header=BB0_33 Depth=2
	s_clause 0x1
	global_load_b64 v[22:23], v1, s[8:9] offset:32 scope:SCOPE_SYS
	global_load_b64 v[12:13], v1, s[8:9] offset:40
	s_mov_b32 s20, exec_lo
	v_dual_mov_b32 v20, s18 :: v_dual_mov_b32 v21, s19
	s_wait_loadcnt 0x0
	v_and_b32_e32 v13, s19, v13
	v_and_b32_e32 v12, s18, v12
	s_delay_alu instid0(VALU_DEP_1) | instskip(NEXT) | instid1(VALU_DEP_1)
	v_mul_u64_e32 v[12:13], 24, v[12:13]
	v_add_nc_u64_e32 v[18:19], v[30:31], v[12:13]
	global_store_b64 v[18:19], v[22:23], off
	global_wb scope:SCOPE_SYS
	s_wait_storecnt 0x0
	s_wait_xcnt 0x0
	global_atomic_cmpswap_b64 v[14:15], v1, v[20:23], s[8:9] offset:32 th:TH_ATOMIC_RETURN scope:SCOPE_SYS
	s_wait_loadcnt 0x0
	v_cmpx_ne_u64_e64 v[14:15], v[22:23]
	s_cbranch_execz .LBB0_94
; %bb.92:                               ;   in Loop: Header=BB0_33 Depth=2
	s_mov_b32 s21, 0
.LBB0_93:                               ;   Parent Loop BB0_4 Depth=1
                                        ;     Parent Loop BB0_33 Depth=2
                                        ; =>    This Inner Loop Header: Depth=3
	v_dual_mov_b32 v12, s18 :: v_dual_mov_b32 v13, s19
	s_sleep 1
	global_store_b64 v[18:19], v[14:15], off
	global_wb scope:SCOPE_SYS
	s_wait_storecnt 0x0
	s_wait_xcnt 0x0
	global_atomic_cmpswap_b64 v[12:13], v1, v[12:15], s[8:9] offset:32 th:TH_ATOMIC_RETURN scope:SCOPE_SYS
	s_wait_loadcnt 0x0
	v_cmp_eq_u64_e32 vcc_lo, v[12:13], v[14:15]
	v_mov_b64_e32 v[14:15], v[12:13]
	s_or_b32 s21, vcc_lo, s21
	s_delay_alu instid0(SALU_CYCLE_1)
	s_and_not1_b32 exec_lo, exec_lo, s21
	s_cbranch_execnz .LBB0_93
.LBB0_94:                               ;   in Loop: Header=BB0_33 Depth=2
	s_or_b32 exec_lo, exec_lo, s20
	global_load_b64 v[12:13], v1, s[8:9] offset:16
	s_mov_b32 s21, exec_lo
	s_mov_b32 s20, exec_lo
	v_mbcnt_lo_u32_b32 v0, s21, 0
	s_wait_xcnt 0x0
	s_delay_alu instid0(VALU_DEP_1)
	v_cmpx_eq_u32_e32 0, v0
	s_cbranch_execz .LBB0_96
; %bb.95:                               ;   in Loop: Header=BB0_33 Depth=2
	s_bcnt1_i32_b32 s21, s21
	s_delay_alu instid0(SALU_CYCLE_1)
	v_mov_b32_e32 v0, s21
	global_wb scope:SCOPE_SYS
	s_wait_loadcnt 0x0
	s_wait_storecnt 0x0
	global_atomic_add_u64 v[12:13], v[0:1], off offset:8 scope:SCOPE_SYS
.LBB0_96:                               ;   in Loop: Header=BB0_33 Depth=2
	s_wait_xcnt 0x0
	s_or_b32 exec_lo, exec_lo, s20
	s_wait_loadcnt 0x0
	global_load_b64 v[14:15], v[12:13], off offset:16
	s_wait_loadcnt 0x0
	v_cmp_eq_u64_e32 vcc_lo, 0, v[14:15]
	s_cbranch_vccnz .LBB0_98
; %bb.97:                               ;   in Loop: Header=BB0_33 Depth=2
	global_load_b32 v0, v[12:13], off offset:24
	s_wait_loadcnt 0x0
	v_readfirstlane_b32 s20, v0
	global_wb scope:SCOPE_SYS
	s_wait_storecnt 0x0
	s_wait_xcnt 0x0
	global_store_b64 v[14:15], v[0:1], off scope:SCOPE_SYS
	s_and_b32 m0, s20, 0xffffff
	s_sendmsg sendmsg(MSG_INTERRUPT)
.LBB0_98:                               ;   in Loop: Header=BB0_33 Depth=2
	s_wait_xcnt 0x0
	s_or_b32 exec_lo, exec_lo, s1
	v_mov_b32_e32 v37, v1
	s_delay_alu instid0(VALU_DEP_1)
	v_add_nc_u64_e32 v[12:13], v[32:33], v[36:37]
	s_branch .LBB0_102
.LBB0_99:                               ;   in Loop: Header=BB0_102 Depth=3
	s_wait_xcnt 0x0
	s_or_b32 exec_lo, exec_lo, s1
	s_delay_alu instid0(VALU_DEP_1)
	v_readfirstlane_b32 s1, v0
	s_cmp_eq_u32 s1, 0
	s_cbranch_scc1 .LBB0_101
; %bb.100:                              ;   in Loop: Header=BB0_102 Depth=3
	s_sleep 1
	s_cbranch_execnz .LBB0_102
	s_branch .LBB0_104
.LBB0_101:                              ;   in Loop: Header=BB0_33 Depth=2
	s_branch .LBB0_104
.LBB0_102:                              ;   Parent Loop BB0_4 Depth=1
                                        ;     Parent Loop BB0_33 Depth=2
                                        ; =>    This Inner Loop Header: Depth=3
	v_mov_b32_e32 v0, 1
	s_and_saveexec_b32 s1, s0
	s_cbranch_execz .LBB0_99
; %bb.103:                              ;   in Loop: Header=BB0_102 Depth=3
	global_load_b32 v0, v[42:43], off offset:20 scope:SCOPE_SYS
	s_wait_loadcnt 0x0
	global_inv scope:SCOPE_SYS
	v_and_b32_e32 v0, 1, v0
	s_branch .LBB0_99
.LBB0_104:                              ;   in Loop: Header=BB0_33 Depth=2
	global_load_b64 v[12:13], v[12:13], off
	s_wait_xcnt 0x0
	s_and_saveexec_b32 s20, s0
	s_cbranch_execz .LBB0_32
; %bb.105:                              ;   in Loop: Header=BB0_33 Depth=2
	s_clause 0x2
	global_load_b64 v[14:15], v1, s[8:9] offset:40
	global_load_b64 v[22:23], v1, s[8:9] offset:24 scope:SCOPE_SYS
	global_load_b64 v[18:19], v1, s[8:9]
	s_wait_loadcnt 0x2
	v_readfirstlane_b32 s26, v14
	v_readfirstlane_b32 s27, v15
	s_add_nc_u64 s[0:1], s[26:27], 1
	s_delay_alu instid0(SALU_CYCLE_1) | instskip(NEXT) | instid1(SALU_CYCLE_1)
	s_add_nc_u64 s[18:19], s[0:1], s[18:19]
	s_cmp_eq_u64 s[18:19], 0
	s_cselect_b32 s1, s1, s19
	s_cselect_b32 s0, s0, s18
	s_delay_alu instid0(SALU_CYCLE_1) | instskip(SKIP_1) | instid1(SALU_CYCLE_1)
	v_dual_mov_b32 v21, s1 :: v_dual_mov_b32 v20, s0
	s_and_b64 s[18:19], s[0:1], s[26:27]
	s_mul_u64 s[18:19], s[18:19], 24
	s_wait_loadcnt 0x0
	v_add_nc_u64_e32 v[14:15], s[18:19], v[18:19]
	global_store_b64 v[14:15], v[22:23], off
	global_wb scope:SCOPE_SYS
	s_wait_storecnt 0x0
	s_wait_xcnt 0x0
	global_atomic_cmpswap_b64 v[20:21], v1, v[20:23], s[8:9] offset:24 th:TH_ATOMIC_RETURN scope:SCOPE_SYS
	s_wait_loadcnt 0x0
	v_cmp_ne_u64_e32 vcc_lo, v[20:21], v[22:23]
	s_and_b32 exec_lo, exec_lo, vcc_lo
	s_cbranch_execz .LBB0_32
; %bb.106:                              ;   in Loop: Header=BB0_33 Depth=2
	s_mov_b32 s18, 0
.LBB0_107:                              ;   Parent Loop BB0_4 Depth=1
                                        ;     Parent Loop BB0_33 Depth=2
                                        ; =>    This Inner Loop Header: Depth=3
	v_dual_mov_b32 v18, s0 :: v_dual_mov_b32 v19, s1
	s_sleep 1
	global_store_b64 v[14:15], v[20:21], off
	global_wb scope:SCOPE_SYS
	s_wait_storecnt 0x0
	s_wait_xcnt 0x0
	global_atomic_cmpswap_b64 v[18:19], v1, v[18:21], s[8:9] offset:24 th:TH_ATOMIC_RETURN scope:SCOPE_SYS
	s_wait_loadcnt 0x0
	v_cmp_eq_u64_e32 vcc_lo, v[18:19], v[20:21]
	v_mov_b64_e32 v[20:21], v[18:19]
	s_or_b32 s18, vcc_lo, s18
	s_delay_alu instid0(SALU_CYCLE_1)
	s_and_not1_b32 exec_lo, exec_lo, s18
	s_cbranch_execnz .LBB0_107
	s_branch .LBB0_32
.LBB0_108:                              ;   in Loop: Header=BB0_4 Depth=1
.LBB0_109:                              ;   in Loop: Header=BB0_4 Depth=1
	s_and_b32 vcc_lo, exec_lo, s24
	s_cbranch_vccz .LBB0_216
.LBB0_110:                              ;   in Loop: Header=BB0_4 Depth=1
	s_wait_loadcnt 0x0
	v_dual_mov_b32 v15, v13 :: v_dual_bitop2_b32 v14, -3, v12 bitop3:0x40
	s_mov_b64 s[12:13], 56
	s_mov_b64 s[14:15], s[10:11]
	s_branch .LBB0_112
.LBB0_111:                              ;   in Loop: Header=BB0_112 Depth=2
	s_or_b32 exec_lo, exec_lo, s20
	s_sub_nc_u64 s[12:13], s[12:13], s[16:17]
	s_add_nc_u64 s[14:15], s[14:15], s[16:17]
	s_cmp_lg_u64 s[12:13], 0
	s_cbranch_scc0 .LBB0_187
.LBB0_112:                              ;   Parent Loop BB0_4 Depth=1
                                        ; =>  This Loop Header: Depth=2
                                        ;       Child Loop BB0_115 Depth 3
                                        ;       Child Loop BB0_122 Depth 3
	;; [unrolled: 1-line block ×11, first 2 shown]
	s_wait_loadcnt 0x0
	v_min_u64 v[16:17], s[12:13], 56
	v_cmp_gt_u64_e64 s0, s[12:13], 7
	s_and_b32 vcc_lo, exec_lo, s0
	v_readfirstlane_b32 s16, v16
	v_readfirstlane_b32 s17, v17
	s_cbranch_vccnz .LBB0_117
; %bb.113:                              ;   in Loop: Header=BB0_112 Depth=2
	v_mov_b64_e32 v[16:17], 0
	s_cmp_eq_u64 s[12:13], 0
	s_cbranch_scc1 .LBB0_116
; %bb.114:                              ;   in Loop: Header=BB0_112 Depth=2
	s_mov_b64 s[0:1], 0
	s_mov_b64 s[18:19], 0
.LBB0_115:                              ;   Parent Loop BB0_4 Depth=1
                                        ;     Parent Loop BB0_112 Depth=2
                                        ; =>    This Inner Loop Header: Depth=3
	s_wait_xcnt 0x0
	s_add_nc_u64 s[20:21], s[14:15], s[18:19]
	s_add_nc_u64 s[18:19], s[18:19], 1
	global_load_u8 v0, v1, s[20:21]
	s_cmp_lg_u32 s16, s18
	s_wait_loadcnt 0x0
	v_and_b32_e32 v0, 0xffff, v0
	s_delay_alu instid0(VALU_DEP_1) | instskip(SKIP_1) | instid1(VALU_DEP_1)
	v_lshlrev_b64_e32 v[18:19], s0, v[0:1]
	s_add_nc_u64 s[0:1], s[0:1], 8
	v_or_b32_e32 v16, v18, v16
	s_delay_alu instid0(VALU_DEP_2)
	v_or_b32_e32 v17, v19, v17
	s_cbranch_scc1 .LBB0_115
.LBB0_116:                              ;   in Loop: Header=BB0_112 Depth=2
	s_mov_b64 s[0:1], s[14:15]
	s_mov_b32 s26, 0
	s_cbranch_execz .LBB0_118
	s_branch .LBB0_119
.LBB0_117:                              ;   in Loop: Header=BB0_112 Depth=2
	s_add_nc_u64 s[0:1], s[14:15], 8
	s_mov_b32 s26, 0
.LBB0_118:                              ;   in Loop: Header=BB0_112 Depth=2
	global_load_b64 v[16:17], v1, s[14:15]
	s_add_co_i32 s26, s16, -8
.LBB0_119:                              ;   in Loop: Header=BB0_112 Depth=2
	s_delay_alu instid0(SALU_CYCLE_1)
	s_cmp_gt_u32 s26, 7
	s_cbranch_scc1 .LBB0_124
; %bb.120:                              ;   in Loop: Header=BB0_112 Depth=2
	v_mov_b64_e32 v[18:19], 0
	s_cmp_eq_u32 s26, 0
	s_cbranch_scc1 .LBB0_123
; %bb.121:                              ;   in Loop: Header=BB0_112 Depth=2
	s_mov_b64 s[18:19], 0
	s_wait_xcnt 0x0
	s_mov_b64 s[20:21], 0
.LBB0_122:                              ;   Parent Loop BB0_4 Depth=1
                                        ;     Parent Loop BB0_112 Depth=2
                                        ; =>    This Inner Loop Header: Depth=3
	s_wait_xcnt 0x0
	s_add_nc_u64 s[28:29], s[0:1], s[20:21]
	s_add_nc_u64 s[20:21], s[20:21], 1
	global_load_u8 v0, v1, s[28:29]
	s_cmp_lg_u32 s26, s20
	s_wait_loadcnt 0x0
	v_and_b32_e32 v0, 0xffff, v0
	s_delay_alu instid0(VALU_DEP_1) | instskip(SKIP_1) | instid1(VALU_DEP_1)
	v_lshlrev_b64_e32 v[20:21], s18, v[0:1]
	s_add_nc_u64 s[18:19], s[18:19], 8
	v_or_b32_e32 v18, v20, v18
	s_delay_alu instid0(VALU_DEP_2)
	v_or_b32_e32 v19, v21, v19
	s_cbranch_scc1 .LBB0_122
.LBB0_123:                              ;   in Loop: Header=BB0_112 Depth=2
	s_wait_xcnt 0x0
	s_mov_b64 s[18:19], s[0:1]
	s_mov_b32 s27, 0
	s_cbranch_execz .LBB0_125
	s_branch .LBB0_126
.LBB0_124:                              ;   in Loop: Header=BB0_112 Depth=2
	s_add_nc_u64 s[18:19], s[0:1], 8
	s_wait_xcnt 0x0
                                        ; implicit-def: $vgpr18_vgpr19
	s_mov_b32 s27, 0
.LBB0_125:                              ;   in Loop: Header=BB0_112 Depth=2
	global_load_b64 v[18:19], v1, s[0:1]
	s_add_co_i32 s27, s26, -8
.LBB0_126:                              ;   in Loop: Header=BB0_112 Depth=2
	s_delay_alu instid0(SALU_CYCLE_1)
	s_cmp_gt_u32 s27, 7
	s_cbranch_scc1 .LBB0_131
; %bb.127:                              ;   in Loop: Header=BB0_112 Depth=2
	v_mov_b64_e32 v[20:21], 0
	s_cmp_eq_u32 s27, 0
	s_cbranch_scc1 .LBB0_130
; %bb.128:                              ;   in Loop: Header=BB0_112 Depth=2
	s_wait_xcnt 0x0
	s_mov_b64 s[0:1], 0
	s_mov_b64 s[20:21], 0
.LBB0_129:                              ;   Parent Loop BB0_4 Depth=1
                                        ;     Parent Loop BB0_112 Depth=2
                                        ; =>    This Inner Loop Header: Depth=3
	s_wait_xcnt 0x0
	s_add_nc_u64 s[28:29], s[18:19], s[20:21]
	s_add_nc_u64 s[20:21], s[20:21], 1
	global_load_u8 v0, v1, s[28:29]
	s_cmp_lg_u32 s27, s20
	s_wait_loadcnt 0x0
	v_and_b32_e32 v0, 0xffff, v0
	s_delay_alu instid0(VALU_DEP_1) | instskip(SKIP_1) | instid1(VALU_DEP_1)
	v_lshlrev_b64_e32 v[22:23], s0, v[0:1]
	s_add_nc_u64 s[0:1], s[0:1], 8
	v_or_b32_e32 v20, v22, v20
	s_delay_alu instid0(VALU_DEP_2)
	v_or_b32_e32 v21, v23, v21
	s_cbranch_scc1 .LBB0_129
.LBB0_130:                              ;   in Loop: Header=BB0_112 Depth=2
	s_wait_xcnt 0x0
	s_mov_b64 s[0:1], s[18:19]
	s_mov_b32 s26, 0
	s_cbranch_execz .LBB0_132
	s_branch .LBB0_133
.LBB0_131:                              ;   in Loop: Header=BB0_112 Depth=2
	s_wait_xcnt 0x0
	s_add_nc_u64 s[0:1], s[18:19], 8
	s_mov_b32 s26, 0
.LBB0_132:                              ;   in Loop: Header=BB0_112 Depth=2
	global_load_b64 v[20:21], v1, s[18:19]
	s_add_co_i32 s26, s27, -8
.LBB0_133:                              ;   in Loop: Header=BB0_112 Depth=2
	s_delay_alu instid0(SALU_CYCLE_1)
	s_cmp_gt_u32 s26, 7
	s_cbranch_scc1 .LBB0_138
; %bb.134:                              ;   in Loop: Header=BB0_112 Depth=2
	v_mov_b64_e32 v[22:23], 0
	s_cmp_eq_u32 s26, 0
	s_cbranch_scc1 .LBB0_137
; %bb.135:                              ;   in Loop: Header=BB0_112 Depth=2
	s_wait_xcnt 0x0
	s_mov_b64 s[18:19], 0
	s_mov_b64 s[20:21], 0
.LBB0_136:                              ;   Parent Loop BB0_4 Depth=1
                                        ;     Parent Loop BB0_112 Depth=2
                                        ; =>    This Inner Loop Header: Depth=3
	s_wait_xcnt 0x0
	s_add_nc_u64 s[28:29], s[0:1], s[20:21]
	s_add_nc_u64 s[20:21], s[20:21], 1
	global_load_u8 v0, v1, s[28:29]
	s_cmp_lg_u32 s26, s20
	s_wait_loadcnt 0x0
	v_and_b32_e32 v0, 0xffff, v0
	s_delay_alu instid0(VALU_DEP_1) | instskip(SKIP_1) | instid1(VALU_DEP_1)
	v_lshlrev_b64_e32 v[24:25], s18, v[0:1]
	s_add_nc_u64 s[18:19], s[18:19], 8
	v_or_b32_e32 v22, v24, v22
	s_delay_alu instid0(VALU_DEP_2)
	v_or_b32_e32 v23, v25, v23
	s_cbranch_scc1 .LBB0_136
.LBB0_137:                              ;   in Loop: Header=BB0_112 Depth=2
	s_wait_xcnt 0x0
	s_mov_b64 s[18:19], s[0:1]
	s_mov_b32 s27, 0
	s_cbranch_execz .LBB0_139
	s_branch .LBB0_140
.LBB0_138:                              ;   in Loop: Header=BB0_112 Depth=2
	s_wait_xcnt 0x0
	s_add_nc_u64 s[18:19], s[0:1], 8
                                        ; implicit-def: $vgpr22_vgpr23
	s_mov_b32 s27, 0
.LBB0_139:                              ;   in Loop: Header=BB0_112 Depth=2
	global_load_b64 v[22:23], v1, s[0:1]
	s_add_co_i32 s27, s26, -8
.LBB0_140:                              ;   in Loop: Header=BB0_112 Depth=2
	s_delay_alu instid0(SALU_CYCLE_1)
	s_cmp_gt_u32 s27, 7
	s_cbranch_scc1 .LBB0_145
; %bb.141:                              ;   in Loop: Header=BB0_112 Depth=2
	v_mov_b64_e32 v[24:25], 0
	s_cmp_eq_u32 s27, 0
	s_cbranch_scc1 .LBB0_144
; %bb.142:                              ;   in Loop: Header=BB0_112 Depth=2
	s_wait_xcnt 0x0
	s_mov_b64 s[0:1], 0
	s_mov_b64 s[20:21], 0
.LBB0_143:                              ;   Parent Loop BB0_4 Depth=1
                                        ;     Parent Loop BB0_112 Depth=2
                                        ; =>    This Inner Loop Header: Depth=3
	s_wait_xcnt 0x0
	s_add_nc_u64 s[28:29], s[18:19], s[20:21]
	s_add_nc_u64 s[20:21], s[20:21], 1
	global_load_u8 v0, v1, s[28:29]
	s_cmp_lg_u32 s27, s20
	s_wait_loadcnt 0x0
	v_and_b32_e32 v0, 0xffff, v0
	s_delay_alu instid0(VALU_DEP_1) | instskip(SKIP_1) | instid1(VALU_DEP_1)
	v_lshlrev_b64_e32 v[26:27], s0, v[0:1]
	s_add_nc_u64 s[0:1], s[0:1], 8
	v_or_b32_e32 v24, v26, v24
	s_delay_alu instid0(VALU_DEP_2)
	v_or_b32_e32 v25, v27, v25
	s_cbranch_scc1 .LBB0_143
.LBB0_144:                              ;   in Loop: Header=BB0_112 Depth=2
	s_wait_xcnt 0x0
	s_mov_b64 s[0:1], s[18:19]
	s_mov_b32 s26, 0
	s_cbranch_execz .LBB0_146
	s_branch .LBB0_147
.LBB0_145:                              ;   in Loop: Header=BB0_112 Depth=2
	s_wait_xcnt 0x0
	s_add_nc_u64 s[0:1], s[18:19], 8
	s_mov_b32 s26, 0
.LBB0_146:                              ;   in Loop: Header=BB0_112 Depth=2
	global_load_b64 v[24:25], v1, s[18:19]
	s_add_co_i32 s26, s27, -8
.LBB0_147:                              ;   in Loop: Header=BB0_112 Depth=2
	s_delay_alu instid0(SALU_CYCLE_1)
	s_cmp_gt_u32 s26, 7
	s_cbranch_scc1 .LBB0_152
; %bb.148:                              ;   in Loop: Header=BB0_112 Depth=2
	v_mov_b64_e32 v[26:27], 0
	s_cmp_eq_u32 s26, 0
	s_cbranch_scc1 .LBB0_151
; %bb.149:                              ;   in Loop: Header=BB0_112 Depth=2
	s_wait_xcnt 0x0
	s_mov_b64 s[18:19], 0
	s_mov_b64 s[20:21], 0
.LBB0_150:                              ;   Parent Loop BB0_4 Depth=1
                                        ;     Parent Loop BB0_112 Depth=2
                                        ; =>    This Inner Loop Header: Depth=3
	s_wait_xcnt 0x0
	s_add_nc_u64 s[28:29], s[0:1], s[20:21]
	s_add_nc_u64 s[20:21], s[20:21], 1
	global_load_u8 v0, v1, s[28:29]
	s_cmp_lg_u32 s26, s20
	s_wait_loadcnt 0x0
	v_and_b32_e32 v0, 0xffff, v0
	s_delay_alu instid0(VALU_DEP_1) | instskip(SKIP_1) | instid1(VALU_DEP_1)
	v_lshlrev_b64_e32 v[28:29], s18, v[0:1]
	s_add_nc_u64 s[18:19], s[18:19], 8
	v_or_b32_e32 v26, v28, v26
	s_delay_alu instid0(VALU_DEP_2)
	v_or_b32_e32 v27, v29, v27
	s_cbranch_scc1 .LBB0_150
.LBB0_151:                              ;   in Loop: Header=BB0_112 Depth=2
	s_wait_xcnt 0x0
	s_mov_b64 s[18:19], s[0:1]
	s_mov_b32 s27, 0
	s_cbranch_execz .LBB0_153
	s_branch .LBB0_154
.LBB0_152:                              ;   in Loop: Header=BB0_112 Depth=2
	s_wait_xcnt 0x0
	s_add_nc_u64 s[18:19], s[0:1], 8
                                        ; implicit-def: $vgpr26_vgpr27
	s_mov_b32 s27, 0
.LBB0_153:                              ;   in Loop: Header=BB0_112 Depth=2
	global_load_b64 v[26:27], v1, s[0:1]
	s_add_co_i32 s27, s26, -8
.LBB0_154:                              ;   in Loop: Header=BB0_112 Depth=2
	s_delay_alu instid0(SALU_CYCLE_1)
	s_cmp_gt_u32 s27, 7
	s_cbranch_scc1 .LBB0_159
; %bb.155:                              ;   in Loop: Header=BB0_112 Depth=2
	v_mov_b64_e32 v[28:29], 0
	s_cmp_eq_u32 s27, 0
	s_cbranch_scc1 .LBB0_158
; %bb.156:                              ;   in Loop: Header=BB0_112 Depth=2
	s_wait_xcnt 0x0
	s_mov_b64 s[0:1], 0
	s_mov_b64 s[20:21], s[18:19]
.LBB0_157:                              ;   Parent Loop BB0_4 Depth=1
                                        ;     Parent Loop BB0_112 Depth=2
                                        ; =>    This Inner Loop Header: Depth=3
	global_load_u8 v0, v1, s[20:21]
	s_add_co_i32 s27, s27, -1
	s_wait_xcnt 0x0
	s_add_nc_u64 s[20:21], s[20:21], 1
	s_cmp_lg_u32 s27, 0
	s_wait_loadcnt 0x0
	v_and_b32_e32 v0, 0xffff, v0
	s_delay_alu instid0(VALU_DEP_1) | instskip(SKIP_1) | instid1(VALU_DEP_1)
	v_lshlrev_b64_e32 v[30:31], s0, v[0:1]
	s_add_nc_u64 s[0:1], s[0:1], 8
	v_or_b32_e32 v28, v30, v28
	s_delay_alu instid0(VALU_DEP_2)
	v_or_b32_e32 v29, v31, v29
	s_cbranch_scc1 .LBB0_157
.LBB0_158:                              ;   in Loop: Header=BB0_112 Depth=2
	s_wait_xcnt 0x0
	s_cbranch_execz .LBB0_160
	s_branch .LBB0_161
.LBB0_159:                              ;   in Loop: Header=BB0_112 Depth=2
	s_wait_xcnt 0x0
.LBB0_160:                              ;   in Loop: Header=BB0_112 Depth=2
	global_load_b64 v[28:29], v1, s[18:19]
.LBB0_161:                              ;   in Loop: Header=BB0_112 Depth=2
	v_readfirstlane_b32 s0, v34
	v_mov_b64_e32 v[40:41], 0
	s_delay_alu instid0(VALU_DEP_2)
	v_cmp_eq_u32_e64 s0, s0, v34
	s_wait_xcnt 0x0
	s_and_saveexec_b32 s1, s0
	s_cbranch_execz .LBB0_167
; %bb.162:                              ;   in Loop: Header=BB0_112 Depth=2
	global_load_b64 v[32:33], v1, s[8:9] offset:24 scope:SCOPE_SYS
	s_wait_loadcnt 0x0
	global_inv scope:SCOPE_SYS
	s_clause 0x1
	global_load_b64 v[30:31], v1, s[8:9] offset:40
	global_load_b64 v[40:41], v1, s[8:9]
	s_mov_b32 s18, exec_lo
	s_wait_loadcnt 0x1
	v_and_b32_e32 v30, v30, v32
	v_and_b32_e32 v31, v31, v33
	s_delay_alu instid0(VALU_DEP_1) | instskip(SKIP_1) | instid1(VALU_DEP_1)
	v_mul_u64_e32 v[30:31], 24, v[30:31]
	s_wait_loadcnt 0x0
	v_add_nc_u64_e32 v[30:31], v[40:41], v[30:31]
	global_load_b64 v[30:31], v[30:31], off scope:SCOPE_SYS
	s_wait_xcnt 0x0
	s_wait_loadcnt 0x0
	global_atomic_cmpswap_b64 v[40:41], v1, v[30:33], s[8:9] offset:24 th:TH_ATOMIC_RETURN scope:SCOPE_SYS
	s_wait_loadcnt 0x0
	global_inv scope:SCOPE_SYS
	s_wait_xcnt 0x0
	v_cmpx_ne_u64_e64 v[40:41], v[32:33]
	s_cbranch_execz .LBB0_166
; %bb.163:                              ;   in Loop: Header=BB0_112 Depth=2
	s_mov_b32 s19, 0
.LBB0_164:                              ;   Parent Loop BB0_4 Depth=1
                                        ;     Parent Loop BB0_112 Depth=2
                                        ; =>    This Inner Loop Header: Depth=3
	s_sleep 1
	s_clause 0x1
	global_load_b64 v[30:31], v1, s[8:9] offset:40
	global_load_b64 v[42:43], v1, s[8:9]
	v_mov_b64_e32 v[32:33], v[40:41]
	s_wait_loadcnt 0x1
	s_delay_alu instid0(VALU_DEP_1) | instskip(SKIP_1) | instid1(VALU_DEP_1)
	v_and_b32_e32 v0, v30, v32
	s_wait_loadcnt 0x0
	v_mad_nc_u64_u32 v[40:41], v0, 24, v[42:43]
	s_delay_alu instid0(VALU_DEP_3) | instskip(NEXT) | instid1(VALU_DEP_1)
	v_and_b32_e32 v0, v31, v33
	v_mad_u32 v41, v0, 24, v41
	global_load_b64 v[30:31], v[40:41], off scope:SCOPE_SYS
	s_wait_xcnt 0x0
	s_wait_loadcnt 0x0
	global_atomic_cmpswap_b64 v[40:41], v1, v[30:33], s[8:9] offset:24 th:TH_ATOMIC_RETURN scope:SCOPE_SYS
	s_wait_loadcnt 0x0
	global_inv scope:SCOPE_SYS
	v_cmp_eq_u64_e32 vcc_lo, v[40:41], v[32:33]
	s_or_b32 s19, vcc_lo, s19
	s_wait_xcnt 0x0
	s_and_not1_b32 exec_lo, exec_lo, s19
	s_cbranch_execnz .LBB0_164
; %bb.165:                              ;   in Loop: Header=BB0_112 Depth=2
	s_or_b32 exec_lo, exec_lo, s19
.LBB0_166:                              ;   in Loop: Header=BB0_112 Depth=2
	s_delay_alu instid0(SALU_CYCLE_1)
	s_or_b32 exec_lo, exec_lo, s18
.LBB0_167:                              ;   in Loop: Header=BB0_112 Depth=2
	s_delay_alu instid0(SALU_CYCLE_1)
	s_or_b32 exec_lo, exec_lo, s1
	s_clause 0x1
	global_load_b64 v[42:43], v1, s[8:9] offset:40
	global_load_b128 v[30:33], v1, s[8:9]
	v_readfirstlane_b32 s18, v40
	v_readfirstlane_b32 s19, v41
	s_mov_b32 s1, exec_lo
	s_wait_loadcnt 0x1
	v_and_b32_e32 v42, s18, v42
	v_and_b32_e32 v43, s19, v43
	s_delay_alu instid0(VALU_DEP_1) | instskip(SKIP_1) | instid1(VALU_DEP_1)
	v_mul_u64_e32 v[40:41], 24, v[42:43]
	s_wait_loadcnt 0x0
	v_add_nc_u64_e32 v[40:41], v[30:31], v[40:41]
	s_wait_xcnt 0x0
	s_and_saveexec_b32 s20, s0
	s_cbranch_execz .LBB0_169
; %bb.168:                              ;   in Loop: Header=BB0_112 Depth=2
	v_mov_b32_e32 v0, s1
	global_store_b128 v[40:41], v[0:3], off offset:8
.LBB0_169:                              ;   in Loop: Header=BB0_112 Depth=2
	s_wait_xcnt 0x0
	s_or_b32 exec_lo, exec_lo, s20
	v_cmp_gt_u64_e64 s1, s[12:13], 56
	v_lshlrev_b64_e32 v[42:43], 12, v[42:43]
	v_and_b32_e32 v0, 0xffffff1f, v14
	s_and_b32 s1, s1, exec_lo
	s_delay_alu instid0(VALU_DEP_2) | instskip(SKIP_4) | instid1(VALU_DEP_2)
	v_add_nc_u64_e32 v[32:33], v[32:33], v[42:43]
	s_cselect_b32 s1, 0, 2
	s_lshl_b32 s20, s16, 2
	v_or_b32_e32 v0, s1, v0
	s_add_co_i32 s1, s20, 28
	v_readfirstlane_b32 s20, v32
	s_delay_alu instid0(VALU_DEP_3) | instskip(NEXT) | instid1(VALU_DEP_3)
	v_readfirstlane_b32 s21, v33
	v_and_or_b32 v14, 0x1e0, s1, v0
	s_clause 0x3
	global_store_b128 v36, v[14:17], s[20:21]
	global_store_b128 v36, v[18:21], s[20:21] offset:16
	global_store_b128 v36, v[22:25], s[20:21] offset:32
	;; [unrolled: 1-line block ×3, first 2 shown]
	s_wait_xcnt 0x0
	s_and_saveexec_b32 s1, s0
	s_cbranch_execz .LBB0_177
; %bb.170:                              ;   in Loop: Header=BB0_112 Depth=2
	s_clause 0x1
	global_load_b64 v[22:23], v1, s[8:9] offset:32 scope:SCOPE_SYS
	global_load_b64 v[14:15], v1, s[8:9] offset:40
	s_mov_b32 s20, exec_lo
	v_dual_mov_b32 v20, s18 :: v_dual_mov_b32 v21, s19
	s_wait_loadcnt 0x0
	v_and_b32_e32 v15, s19, v15
	v_and_b32_e32 v14, s18, v14
	s_delay_alu instid0(VALU_DEP_1) | instskip(NEXT) | instid1(VALU_DEP_1)
	v_mul_u64_e32 v[14:15], 24, v[14:15]
	v_add_nc_u64_e32 v[18:19], v[30:31], v[14:15]
	global_store_b64 v[18:19], v[22:23], off
	global_wb scope:SCOPE_SYS
	s_wait_storecnt 0x0
	s_wait_xcnt 0x0
	global_atomic_cmpswap_b64 v[16:17], v1, v[20:23], s[8:9] offset:32 th:TH_ATOMIC_RETURN scope:SCOPE_SYS
	s_wait_loadcnt 0x0
	v_cmpx_ne_u64_e64 v[16:17], v[22:23]
	s_cbranch_execz .LBB0_173
; %bb.171:                              ;   in Loop: Header=BB0_112 Depth=2
	s_mov_b32 s21, 0
.LBB0_172:                              ;   Parent Loop BB0_4 Depth=1
                                        ;     Parent Loop BB0_112 Depth=2
                                        ; =>    This Inner Loop Header: Depth=3
	v_dual_mov_b32 v14, s18 :: v_dual_mov_b32 v15, s19
	s_sleep 1
	global_store_b64 v[18:19], v[16:17], off
	global_wb scope:SCOPE_SYS
	s_wait_storecnt 0x0
	s_wait_xcnt 0x0
	global_atomic_cmpswap_b64 v[14:15], v1, v[14:17], s[8:9] offset:32 th:TH_ATOMIC_RETURN scope:SCOPE_SYS
	s_wait_loadcnt 0x0
	v_cmp_eq_u64_e32 vcc_lo, v[14:15], v[16:17]
	v_mov_b64_e32 v[16:17], v[14:15]
	s_or_b32 s21, vcc_lo, s21
	s_delay_alu instid0(SALU_CYCLE_1)
	s_and_not1_b32 exec_lo, exec_lo, s21
	s_cbranch_execnz .LBB0_172
.LBB0_173:                              ;   in Loop: Header=BB0_112 Depth=2
	s_or_b32 exec_lo, exec_lo, s20
	global_load_b64 v[14:15], v1, s[8:9] offset:16
	s_mov_b32 s21, exec_lo
	s_mov_b32 s20, exec_lo
	v_mbcnt_lo_u32_b32 v0, s21, 0
	s_wait_xcnt 0x0
	s_delay_alu instid0(VALU_DEP_1)
	v_cmpx_eq_u32_e32 0, v0
	s_cbranch_execz .LBB0_175
; %bb.174:                              ;   in Loop: Header=BB0_112 Depth=2
	s_bcnt1_i32_b32 s21, s21
	s_delay_alu instid0(SALU_CYCLE_1)
	v_mov_b32_e32 v0, s21
	global_wb scope:SCOPE_SYS
	s_wait_loadcnt 0x0
	s_wait_storecnt 0x0
	global_atomic_add_u64 v[14:15], v[0:1], off offset:8 scope:SCOPE_SYS
.LBB0_175:                              ;   in Loop: Header=BB0_112 Depth=2
	s_wait_xcnt 0x0
	s_or_b32 exec_lo, exec_lo, s20
	s_wait_loadcnt 0x0
	global_load_b64 v[16:17], v[14:15], off offset:16
	s_wait_loadcnt 0x0
	v_cmp_eq_u64_e32 vcc_lo, 0, v[16:17]
	s_cbranch_vccnz .LBB0_177
; %bb.176:                              ;   in Loop: Header=BB0_112 Depth=2
	global_load_b32 v0, v[14:15], off offset:24
	s_wait_loadcnt 0x0
	v_readfirstlane_b32 s20, v0
	global_wb scope:SCOPE_SYS
	s_wait_storecnt 0x0
	s_wait_xcnt 0x0
	global_store_b64 v[16:17], v[0:1], off scope:SCOPE_SYS
	s_and_b32 m0, s20, 0xffffff
	s_sendmsg sendmsg(MSG_INTERRUPT)
.LBB0_177:                              ;   in Loop: Header=BB0_112 Depth=2
	s_wait_xcnt 0x0
	s_or_b32 exec_lo, exec_lo, s1
	v_mov_b32_e32 v37, v1
	s_delay_alu instid0(VALU_DEP_1)
	v_add_nc_u64_e32 v[14:15], v[32:33], v[36:37]
	s_branch .LBB0_181
.LBB0_178:                              ;   in Loop: Header=BB0_181 Depth=3
	s_wait_xcnt 0x0
	s_or_b32 exec_lo, exec_lo, s1
	s_delay_alu instid0(VALU_DEP_1)
	v_readfirstlane_b32 s1, v0
	s_cmp_eq_u32 s1, 0
	s_cbranch_scc1 .LBB0_180
; %bb.179:                              ;   in Loop: Header=BB0_181 Depth=3
	s_sleep 1
	s_cbranch_execnz .LBB0_181
	s_branch .LBB0_183
.LBB0_180:                              ;   in Loop: Header=BB0_112 Depth=2
	s_branch .LBB0_183
.LBB0_181:                              ;   Parent Loop BB0_4 Depth=1
                                        ;     Parent Loop BB0_112 Depth=2
                                        ; =>    This Inner Loop Header: Depth=3
	v_mov_b32_e32 v0, 1
	s_and_saveexec_b32 s1, s0
	s_cbranch_execz .LBB0_178
; %bb.182:                              ;   in Loop: Header=BB0_181 Depth=3
	global_load_b32 v0, v[40:41], off offset:20 scope:SCOPE_SYS
	s_wait_loadcnt 0x0
	global_inv scope:SCOPE_SYS
	v_and_b32_e32 v0, 1, v0
	s_branch .LBB0_178
.LBB0_183:                              ;   in Loop: Header=BB0_112 Depth=2
	global_load_b128 v[14:17], v[14:15], off
	s_wait_xcnt 0x0
	s_and_saveexec_b32 s20, s0
	s_cbranch_execz .LBB0_111
; %bb.184:                              ;   in Loop: Header=BB0_112 Depth=2
	s_wait_loadcnt 0x0
	s_clause 0x2
	global_load_b64 v[16:17], v1, s[8:9] offset:40
	global_load_b64 v[24:25], v1, s[8:9] offset:24 scope:SCOPE_SYS
	global_load_b64 v[18:19], v1, s[8:9]
	s_wait_loadcnt 0x2
	v_readfirstlane_b32 s26, v16
	v_readfirstlane_b32 s27, v17
	s_add_nc_u64 s[0:1], s[26:27], 1
	s_delay_alu instid0(SALU_CYCLE_1) | instskip(NEXT) | instid1(SALU_CYCLE_1)
	s_add_nc_u64 s[18:19], s[0:1], s[18:19]
	s_cmp_eq_u64 s[18:19], 0
	s_cselect_b32 s1, s1, s19
	s_cselect_b32 s0, s0, s18
	s_delay_alu instid0(SALU_CYCLE_1) | instskip(SKIP_1) | instid1(SALU_CYCLE_1)
	v_dual_mov_b32 v23, s1 :: v_dual_mov_b32 v22, s0
	s_and_b64 s[18:19], s[0:1], s[26:27]
	s_mul_u64 s[18:19], s[18:19], 24
	s_wait_loadcnt 0x0
	v_add_nc_u64_e32 v[20:21], s[18:19], v[18:19]
	global_store_b64 v[20:21], v[24:25], off
	global_wb scope:SCOPE_SYS
	s_wait_storecnt 0x0
	s_wait_xcnt 0x0
	global_atomic_cmpswap_b64 v[18:19], v1, v[22:25], s[8:9] offset:24 th:TH_ATOMIC_RETURN scope:SCOPE_SYS
	s_wait_loadcnt 0x0
	v_cmp_ne_u64_e32 vcc_lo, v[18:19], v[24:25]
	s_and_b32 exec_lo, exec_lo, vcc_lo
	s_cbranch_execz .LBB0_111
; %bb.185:                              ;   in Loop: Header=BB0_112 Depth=2
	s_mov_b32 s18, 0
.LBB0_186:                              ;   Parent Loop BB0_4 Depth=1
                                        ;     Parent Loop BB0_112 Depth=2
                                        ; =>    This Inner Loop Header: Depth=3
	v_dual_mov_b32 v16, s0 :: v_dual_mov_b32 v17, s1
	s_sleep 1
	global_store_b64 v[20:21], v[18:19], off
	global_wb scope:SCOPE_SYS
	s_wait_storecnt 0x0
	s_wait_xcnt 0x0
	global_atomic_cmpswap_b64 v[16:17], v1, v[16:19], s[8:9] offset:24 th:TH_ATOMIC_RETURN scope:SCOPE_SYS
	s_wait_loadcnt 0x0
	v_cmp_eq_u64_e32 vcc_lo, v[16:17], v[18:19]
	v_mov_b64_e32 v[18:19], v[16:17]
	s_or_b32 s18, vcc_lo, s18
	s_delay_alu instid0(SALU_CYCLE_1)
	s_and_not1_b32 exec_lo, exec_lo, s18
	s_cbranch_execnz .LBB0_186
	s_branch .LBB0_111
.LBB0_187:                              ;   in Loop: Header=BB0_4 Depth=1
	s_branch .LBB0_3
.LBB0_188:                              ;   in Loop: Header=BB0_4 Depth=1
                                        ; implicit-def: $vgpr12_vgpr13
	s_cbranch_execz .LBB0_109
; %bb.189:                              ;   in Loop: Header=BB0_4 Depth=1
	v_readfirstlane_b32 s0, v34
	v_mov_b64_e32 v[18:19], 0
	s_delay_alu instid0(VALU_DEP_2)
	v_cmp_eq_u32_e64 s0, s0, v34
	s_and_saveexec_b32 s1, s0
	s_cbranch_execz .LBB0_195
; %bb.190:                              ;   in Loop: Header=BB0_4 Depth=1
	global_load_b64 v[14:15], v1, s[8:9] offset:24 scope:SCOPE_SYS
	s_wait_loadcnt 0x0
	global_inv scope:SCOPE_SYS
	s_clause 0x1
	global_load_b64 v[12:13], v1, s[8:9] offset:40
	global_load_b64 v[18:19], v1, s[8:9]
	s_mov_b32 s12, exec_lo
	s_wait_loadcnt 0x1
	v_and_b32_e32 v12, v12, v14
	v_and_b32_e32 v13, v13, v15
	s_delay_alu instid0(VALU_DEP_1) | instskip(SKIP_1) | instid1(VALU_DEP_1)
	v_mul_u64_e32 v[12:13], 24, v[12:13]
	s_wait_loadcnt 0x0
	v_add_nc_u64_e32 v[12:13], v[18:19], v[12:13]
	global_load_b64 v[12:13], v[12:13], off scope:SCOPE_SYS
	s_wait_xcnt 0x0
	s_wait_loadcnt 0x0
	global_atomic_cmpswap_b64 v[18:19], v1, v[12:15], s[8:9] offset:24 th:TH_ATOMIC_RETURN scope:SCOPE_SYS
	s_wait_loadcnt 0x0
	global_inv scope:SCOPE_SYS
	s_wait_xcnt 0x0
	v_cmpx_ne_u64_e64 v[18:19], v[14:15]
	s_cbranch_execz .LBB0_194
; %bb.191:                              ;   in Loop: Header=BB0_4 Depth=1
	s_mov_b32 s13, 0
.LBB0_192:                              ;   Parent Loop BB0_4 Depth=1
                                        ; =>  This Inner Loop Header: Depth=2
	s_sleep 1
	s_clause 0x1
	global_load_b64 v[12:13], v1, s[8:9] offset:40
	global_load_b64 v[20:21], v1, s[8:9]
	v_mov_b64_e32 v[14:15], v[18:19]
	s_wait_loadcnt 0x1
	s_delay_alu instid0(VALU_DEP_1) | instskip(SKIP_1) | instid1(VALU_DEP_1)
	v_and_b32_e32 v0, v12, v14
	s_wait_loadcnt 0x0
	v_mad_nc_u64_u32 v[18:19], v0, 24, v[20:21]
	s_delay_alu instid0(VALU_DEP_3) | instskip(NEXT) | instid1(VALU_DEP_1)
	v_and_b32_e32 v0, v13, v15
	v_mad_u32 v19, v0, 24, v19
	global_load_b64 v[12:13], v[18:19], off scope:SCOPE_SYS
	s_wait_xcnt 0x0
	s_wait_loadcnt 0x0
	global_atomic_cmpswap_b64 v[18:19], v1, v[12:15], s[8:9] offset:24 th:TH_ATOMIC_RETURN scope:SCOPE_SYS
	s_wait_loadcnt 0x0
	global_inv scope:SCOPE_SYS
	v_cmp_eq_u64_e32 vcc_lo, v[18:19], v[14:15]
	s_or_b32 s13, vcc_lo, s13
	s_wait_xcnt 0x0
	s_and_not1_b32 exec_lo, exec_lo, s13
	s_cbranch_execnz .LBB0_192
; %bb.193:                              ;   in Loop: Header=BB0_4 Depth=1
	s_or_b32 exec_lo, exec_lo, s13
.LBB0_194:                              ;   in Loop: Header=BB0_4 Depth=1
	s_delay_alu instid0(SALU_CYCLE_1)
	s_or_b32 exec_lo, exec_lo, s12
.LBB0_195:                              ;   in Loop: Header=BB0_4 Depth=1
	s_delay_alu instid0(SALU_CYCLE_1)
	s_or_b32 exec_lo, exec_lo, s1
	global_load_b64 v[20:21], v1, s[8:9] offset:40
	s_wait_loadcnt 0x1
	global_load_b128 v[12:15], v1, s[8:9]
	v_readfirstlane_b32 s12, v18
	v_readfirstlane_b32 s13, v19
	s_mov_b32 s1, exec_lo
	s_wait_loadcnt 0x1
	v_and_b32_e32 v18, s12, v20
	v_and_b32_e32 v19, s13, v21
	s_delay_alu instid0(VALU_DEP_1) | instskip(SKIP_1) | instid1(VALU_DEP_1)
	v_mul_u64_e32 v[20:21], 24, v[18:19]
	s_wait_loadcnt 0x0
	v_add_nc_u64_e32 v[20:21], v[12:13], v[20:21]
	s_wait_xcnt 0x0
	s_and_saveexec_b32 s14, s0
	s_cbranch_execz .LBB0_197
; %bb.196:                              ;   in Loop: Header=BB0_4 Depth=1
	v_mov_b32_e32 v0, s1
	global_store_b128 v[20:21], v[0:3], off offset:8
.LBB0_197:                              ;   in Loop: Header=BB0_4 Depth=1
	s_wait_xcnt 0x0
	s_or_b32 exec_lo, exec_lo, s14
	v_lshlrev_b64_e32 v[18:19], 12, v[18:19]
	v_mov_b64_e32 v[26:27], s[6:7]
	v_mov_b64_e32 v[24:25], s[4:5]
	v_and_or_b32 v16, 0xffffff1f, v16, 32
	s_delay_alu instid0(VALU_DEP_4) | instskip(SKIP_1) | instid1(VALU_DEP_2)
	v_add_nc_u64_e32 v[22:23], v[14:15], v[18:19]
	v_dual_mov_b32 v18, v1 :: v_dual_mov_b32 v19, v1
	v_readfirstlane_b32 s14, v22
	s_delay_alu instid0(VALU_DEP_3)
	v_readfirstlane_b32 s15, v23
	s_clause 0x3
	global_store_b128 v36, v[16:19], s[14:15]
	global_store_b128 v36, v[24:27], s[14:15] offset:16
	global_store_b128 v36, v[24:27], s[14:15] offset:32
	;; [unrolled: 1-line block ×3, first 2 shown]
	s_wait_xcnt 0x0
	s_and_saveexec_b32 s1, s0
	s_cbranch_execz .LBB0_205
; %bb.198:                              ;   in Loop: Header=BB0_4 Depth=1
	s_clause 0x1
	global_load_b64 v[26:27], v1, s[8:9] offset:32 scope:SCOPE_SYS
	global_load_b64 v[14:15], v1, s[8:9] offset:40
	s_mov_b32 s14, exec_lo
	v_dual_mov_b32 v24, s12 :: v_dual_mov_b32 v25, s13
	s_wait_loadcnt 0x0
	v_and_b32_e32 v15, s13, v15
	v_and_b32_e32 v14, s12, v14
	s_delay_alu instid0(VALU_DEP_1) | instskip(NEXT) | instid1(VALU_DEP_1)
	v_mul_u64_e32 v[14:15], 24, v[14:15]
	v_add_nc_u64_e32 v[16:17], v[12:13], v[14:15]
	global_store_b64 v[16:17], v[26:27], off
	global_wb scope:SCOPE_SYS
	s_wait_storecnt 0x0
	s_wait_xcnt 0x0
	global_atomic_cmpswap_b64 v[14:15], v1, v[24:27], s[8:9] offset:32 th:TH_ATOMIC_RETURN scope:SCOPE_SYS
	s_wait_loadcnt 0x0
	v_cmpx_ne_u64_e64 v[14:15], v[26:27]
	s_cbranch_execz .LBB0_201
; %bb.199:                              ;   in Loop: Header=BB0_4 Depth=1
	s_mov_b32 s15, 0
.LBB0_200:                              ;   Parent Loop BB0_4 Depth=1
                                        ; =>  This Inner Loop Header: Depth=2
	v_dual_mov_b32 v12, s12 :: v_dual_mov_b32 v13, s13
	s_sleep 1
	global_store_b64 v[16:17], v[14:15], off
	global_wb scope:SCOPE_SYS
	s_wait_storecnt 0x0
	s_wait_xcnt 0x0
	global_atomic_cmpswap_b64 v[12:13], v1, v[12:15], s[8:9] offset:32 th:TH_ATOMIC_RETURN scope:SCOPE_SYS
	s_wait_loadcnt 0x0
	v_cmp_eq_u64_e32 vcc_lo, v[12:13], v[14:15]
	v_mov_b64_e32 v[14:15], v[12:13]
	s_or_b32 s15, vcc_lo, s15
	s_delay_alu instid0(SALU_CYCLE_1)
	s_and_not1_b32 exec_lo, exec_lo, s15
	s_cbranch_execnz .LBB0_200
.LBB0_201:                              ;   in Loop: Header=BB0_4 Depth=1
	s_or_b32 exec_lo, exec_lo, s14
	global_load_b64 v[12:13], v1, s[8:9] offset:16
	s_mov_b32 s15, exec_lo
	s_mov_b32 s14, exec_lo
	v_mbcnt_lo_u32_b32 v0, s15, 0
	s_wait_xcnt 0x0
	s_delay_alu instid0(VALU_DEP_1)
	v_cmpx_eq_u32_e32 0, v0
	s_cbranch_execz .LBB0_203
; %bb.202:                              ;   in Loop: Header=BB0_4 Depth=1
	s_bcnt1_i32_b32 s15, s15
	s_delay_alu instid0(SALU_CYCLE_1)
	v_mov_b32_e32 v0, s15
	global_wb scope:SCOPE_SYS
	s_wait_loadcnt 0x0
	s_wait_storecnt 0x0
	global_atomic_add_u64 v[12:13], v[0:1], off offset:8 scope:SCOPE_SYS
.LBB0_203:                              ;   in Loop: Header=BB0_4 Depth=1
	s_wait_xcnt 0x0
	s_or_b32 exec_lo, exec_lo, s14
	s_wait_loadcnt 0x0
	global_load_b64 v[14:15], v[12:13], off offset:16
	s_wait_loadcnt 0x0
	v_cmp_eq_u64_e32 vcc_lo, 0, v[14:15]
	s_cbranch_vccnz .LBB0_205
; %bb.204:                              ;   in Loop: Header=BB0_4 Depth=1
	global_load_b32 v0, v[12:13], off offset:24
	s_wait_loadcnt 0x0
	v_readfirstlane_b32 s14, v0
	global_wb scope:SCOPE_SYS
	s_wait_storecnt 0x0
	s_wait_xcnt 0x0
	global_store_b64 v[14:15], v[0:1], off scope:SCOPE_SYS
	s_and_b32 m0, s14, 0xffffff
	s_sendmsg sendmsg(MSG_INTERRUPT)
.LBB0_205:                              ;   in Loop: Header=BB0_4 Depth=1
	s_wait_xcnt 0x0
	s_or_b32 exec_lo, exec_lo, s1
	v_mov_b32_e32 v37, v1
	s_delay_alu instid0(VALU_DEP_1)
	v_add_nc_u64_e32 v[12:13], v[22:23], v[36:37]
	s_branch .LBB0_209
.LBB0_206:                              ;   in Loop: Header=BB0_209 Depth=2
	s_wait_xcnt 0x0
	s_or_b32 exec_lo, exec_lo, s1
	s_delay_alu instid0(VALU_DEP_1)
	v_readfirstlane_b32 s1, v0
	s_cmp_eq_u32 s1, 0
	s_cbranch_scc1 .LBB0_208
; %bb.207:                              ;   in Loop: Header=BB0_209 Depth=2
	s_sleep 1
	s_cbranch_execnz .LBB0_209
	s_branch .LBB0_211
.LBB0_208:                              ;   in Loop: Header=BB0_4 Depth=1
	s_branch .LBB0_211
.LBB0_209:                              ;   Parent Loop BB0_4 Depth=1
                                        ; =>  This Inner Loop Header: Depth=2
	v_mov_b32_e32 v0, 1
	s_and_saveexec_b32 s1, s0
	s_cbranch_execz .LBB0_206
; %bb.210:                              ;   in Loop: Header=BB0_209 Depth=2
	global_load_b32 v0, v[20:21], off offset:20 scope:SCOPE_SYS
	s_wait_loadcnt 0x0
	global_inv scope:SCOPE_SYS
	v_and_b32_e32 v0, 1, v0
	s_branch .LBB0_206
.LBB0_211:                              ;   in Loop: Header=BB0_4 Depth=1
	global_load_b64 v[12:13], v[12:13], off
	s_wait_xcnt 0x0
	s_and_saveexec_b32 s14, s0
	s_cbranch_execz .LBB0_215
; %bb.212:                              ;   in Loop: Header=BB0_4 Depth=1
	s_clause 0x2
	global_load_b64 v[14:15], v1, s[8:9] offset:40
	global_load_b64 v[22:23], v1, s[8:9] offset:24 scope:SCOPE_SYS
	global_load_b64 v[16:17], v1, s[8:9]
	s_wait_loadcnt 0x2
	v_readfirstlane_b32 s16, v14
	v_readfirstlane_b32 s17, v15
	s_add_nc_u64 s[0:1], s[16:17], 1
	s_delay_alu instid0(SALU_CYCLE_1) | instskip(NEXT) | instid1(SALU_CYCLE_1)
	s_add_nc_u64 s[12:13], s[0:1], s[12:13]
	s_cmp_eq_u64 s[12:13], 0
	s_cselect_b32 s1, s1, s13
	s_cselect_b32 s0, s0, s12
	s_delay_alu instid0(SALU_CYCLE_1) | instskip(SKIP_1) | instid1(SALU_CYCLE_1)
	v_dual_mov_b32 v21, s1 :: v_dual_mov_b32 v20, s0
	s_and_b64 s[12:13], s[0:1], s[16:17]
	s_mul_u64 s[12:13], s[12:13], 24
	s_wait_loadcnt 0x0
	v_add_nc_u64_e32 v[18:19], s[12:13], v[16:17]
	global_store_b64 v[18:19], v[22:23], off
	global_wb scope:SCOPE_SYS
	s_wait_storecnt 0x0
	s_wait_xcnt 0x0
	global_atomic_cmpswap_b64 v[16:17], v1, v[20:23], s[8:9] offset:24 th:TH_ATOMIC_RETURN scope:SCOPE_SYS
	s_wait_loadcnt 0x0
	v_cmp_ne_u64_e32 vcc_lo, v[16:17], v[22:23]
	s_and_b32 exec_lo, exec_lo, vcc_lo
	s_cbranch_execz .LBB0_215
; %bb.213:                              ;   in Loop: Header=BB0_4 Depth=1
	s_mov_b32 s12, 0
.LBB0_214:                              ;   Parent Loop BB0_4 Depth=1
                                        ; =>  This Inner Loop Header: Depth=2
	v_dual_mov_b32 v14, s0 :: v_dual_mov_b32 v15, s1
	s_sleep 1
	global_store_b64 v[18:19], v[16:17], off
	global_wb scope:SCOPE_SYS
	s_wait_storecnt 0x0
	s_wait_xcnt 0x0
	global_atomic_cmpswap_b64 v[14:15], v1, v[14:17], s[8:9] offset:24 th:TH_ATOMIC_RETURN scope:SCOPE_SYS
	s_wait_loadcnt 0x0
	v_cmp_eq_u64_e32 vcc_lo, v[14:15], v[16:17]
	v_mov_b64_e32 v[16:17], v[14:15]
	s_or_b32 s12, vcc_lo, s12
	s_delay_alu instid0(SALU_CYCLE_1)
	s_and_not1_b32 exec_lo, exec_lo, s12
	s_cbranch_execnz .LBB0_214
.LBB0_215:                              ;   in Loop: Header=BB0_4 Depth=1
	s_or_b32 exec_lo, exec_lo, s14
	s_delay_alu instid0(SALU_CYCLE_1)
	s_and_b32 vcc_lo, exec_lo, s24
	s_cbranch_vccnz .LBB0_110
.LBB0_216:                              ;   in Loop: Header=BB0_4 Depth=1
	s_cbranch_execz .LBB0_3
; %bb.217:                              ;   in Loop: Header=BB0_4 Depth=1
	v_readfirstlane_b32 s0, v34
	s_wait_loadcnt 0x0
	v_mov_b64_e32 v[14:15], 0
	s_delay_alu instid0(VALU_DEP_2)
	v_cmp_eq_u32_e64 s0, s0, v34
	s_and_saveexec_b32 s1, s0
	s_cbranch_execz .LBB0_223
; %bb.218:                              ;   in Loop: Header=BB0_4 Depth=1
	global_load_b64 v[16:17], v1, s[8:9] offset:24 scope:SCOPE_SYS
	s_wait_loadcnt 0x0
	global_inv scope:SCOPE_SYS
	s_clause 0x1
	global_load_b64 v[14:15], v1, s[8:9] offset:40
	global_load_b64 v[18:19], v1, s[8:9]
	s_mov_b32 s12, exec_lo
	s_wait_loadcnt 0x1
	v_and_b32_e32 v14, v14, v16
	v_and_b32_e32 v15, v15, v17
	s_delay_alu instid0(VALU_DEP_1) | instskip(SKIP_1) | instid1(VALU_DEP_1)
	v_mul_u64_e32 v[14:15], 24, v[14:15]
	s_wait_loadcnt 0x0
	v_add_nc_u64_e32 v[14:15], v[18:19], v[14:15]
	global_load_b64 v[14:15], v[14:15], off scope:SCOPE_SYS
	s_wait_xcnt 0x0
	s_wait_loadcnt 0x0
	global_atomic_cmpswap_b64 v[14:15], v1, v[14:17], s[8:9] offset:24 th:TH_ATOMIC_RETURN scope:SCOPE_SYS
	s_wait_loadcnt 0x0
	global_inv scope:SCOPE_SYS
	s_wait_xcnt 0x0
	v_cmpx_ne_u64_e64 v[14:15], v[16:17]
	s_cbranch_execz .LBB0_222
; %bb.219:                              ;   in Loop: Header=BB0_4 Depth=1
	s_mov_b32 s13, 0
.LBB0_220:                              ;   Parent Loop BB0_4 Depth=1
                                        ; =>  This Inner Loop Header: Depth=2
	s_sleep 1
	s_clause 0x1
	global_load_b64 v[18:19], v1, s[8:9] offset:40
	global_load_b64 v[20:21], v1, s[8:9]
	v_mov_b64_e32 v[16:17], v[14:15]
	s_wait_loadcnt 0x1
	s_delay_alu instid0(VALU_DEP_1) | instskip(SKIP_1) | instid1(VALU_DEP_1)
	v_and_b32_e32 v0, v18, v16
	s_wait_loadcnt 0x0
	v_mad_nc_u64_u32 v[14:15], v0, 24, v[20:21]
	s_delay_alu instid0(VALU_DEP_3) | instskip(NEXT) | instid1(VALU_DEP_1)
	v_and_b32_e32 v0, v19, v17
	v_mad_u32 v15, v0, 24, v15
	global_load_b64 v[14:15], v[14:15], off scope:SCOPE_SYS
	s_wait_xcnt 0x0
	s_wait_loadcnt 0x0
	global_atomic_cmpswap_b64 v[14:15], v1, v[14:17], s[8:9] offset:24 th:TH_ATOMIC_RETURN scope:SCOPE_SYS
	s_wait_loadcnt 0x0
	global_inv scope:SCOPE_SYS
	v_cmp_eq_u64_e32 vcc_lo, v[14:15], v[16:17]
	s_or_b32 s13, vcc_lo, s13
	s_wait_xcnt 0x0
	s_and_not1_b32 exec_lo, exec_lo, s13
	s_cbranch_execnz .LBB0_220
; %bb.221:                              ;   in Loop: Header=BB0_4 Depth=1
	s_or_b32 exec_lo, exec_lo, s13
.LBB0_222:                              ;   in Loop: Header=BB0_4 Depth=1
	s_delay_alu instid0(SALU_CYCLE_1)
	s_or_b32 exec_lo, exec_lo, s12
.LBB0_223:                              ;   in Loop: Header=BB0_4 Depth=1
	s_delay_alu instid0(SALU_CYCLE_1)
	s_or_b32 exec_lo, exec_lo, s1
	s_clause 0x1
	global_load_b64 v[20:21], v1, s[8:9] offset:40
	global_load_b128 v[16:19], v1, s[8:9]
	v_readfirstlane_b32 s12, v14
	v_readfirstlane_b32 s13, v15
	s_mov_b32 s1, exec_lo
	s_wait_loadcnt 0x1
	v_and_b32_e32 v14, s12, v20
	v_and_b32_e32 v15, s13, v21
	s_delay_alu instid0(VALU_DEP_1) | instskip(SKIP_1) | instid1(VALU_DEP_1)
	v_mul_u64_e32 v[20:21], 24, v[14:15]
	s_wait_loadcnt 0x0
	v_add_nc_u64_e32 v[20:21], v[16:17], v[20:21]
	s_wait_xcnt 0x0
	s_and_saveexec_b32 s14, s0
	s_cbranch_execz .LBB0_225
; %bb.224:                              ;   in Loop: Header=BB0_4 Depth=1
	v_mov_b32_e32 v0, s1
	global_store_b128 v[20:21], v[0:3], off offset:8
.LBB0_225:                              ;   in Loop: Header=BB0_4 Depth=1
	s_wait_xcnt 0x0
	s_or_b32 exec_lo, exec_lo, s14
	v_lshlrev_b64_e32 v[14:15], 12, v[14:15]
	v_mov_b64_e32 v[24:25], s[6:7]
	v_mov_b64_e32 v[22:23], s[4:5]
	v_and_or_b32 v12, 0xffffff1d, v12, 34
	s_delay_alu instid0(VALU_DEP_4) | instskip(SKIP_1) | instid1(VALU_DEP_2)
	v_add_nc_u64_e32 v[18:19], v[18:19], v[14:15]
	v_dual_mov_b32 v14, v1 :: v_dual_mov_b32 v15, v1
	v_readfirstlane_b32 s14, v18
	s_delay_alu instid0(VALU_DEP_3)
	v_readfirstlane_b32 s15, v19
	s_clause 0x3
	global_store_b128 v36, v[12:15], s[14:15]
	global_store_b128 v36, v[22:25], s[14:15] offset:16
	global_store_b128 v36, v[22:25], s[14:15] offset:32
	;; [unrolled: 1-line block ×3, first 2 shown]
	s_wait_xcnt 0x0
	s_and_saveexec_b32 s1, s0
	s_cbranch_execz .LBB0_233
; %bb.226:                              ;   in Loop: Header=BB0_4 Depth=1
	s_clause 0x1
	global_load_b64 v[24:25], v1, s[8:9] offset:32 scope:SCOPE_SYS
	global_load_b64 v[12:13], v1, s[8:9] offset:40
	s_mov_b32 s14, exec_lo
	v_dual_mov_b32 v22, s12 :: v_dual_mov_b32 v23, s13
	s_wait_loadcnt 0x0
	v_and_b32_e32 v13, s13, v13
	v_and_b32_e32 v12, s12, v12
	s_delay_alu instid0(VALU_DEP_1) | instskip(NEXT) | instid1(VALU_DEP_1)
	v_mul_u64_e32 v[12:13], 24, v[12:13]
	v_add_nc_u64_e32 v[16:17], v[16:17], v[12:13]
	global_store_b64 v[16:17], v[24:25], off
	global_wb scope:SCOPE_SYS
	s_wait_storecnt 0x0
	s_wait_xcnt 0x0
	global_atomic_cmpswap_b64 v[14:15], v1, v[22:25], s[8:9] offset:32 th:TH_ATOMIC_RETURN scope:SCOPE_SYS
	s_wait_loadcnt 0x0
	v_cmpx_ne_u64_e64 v[14:15], v[24:25]
	s_cbranch_execz .LBB0_229
; %bb.227:                              ;   in Loop: Header=BB0_4 Depth=1
	s_mov_b32 s15, 0
.LBB0_228:                              ;   Parent Loop BB0_4 Depth=1
                                        ; =>  This Inner Loop Header: Depth=2
	v_dual_mov_b32 v12, s12 :: v_dual_mov_b32 v13, s13
	s_sleep 1
	global_store_b64 v[16:17], v[14:15], off
	global_wb scope:SCOPE_SYS
	s_wait_storecnt 0x0
	s_wait_xcnt 0x0
	global_atomic_cmpswap_b64 v[12:13], v1, v[12:15], s[8:9] offset:32 th:TH_ATOMIC_RETURN scope:SCOPE_SYS
	s_wait_loadcnt 0x0
	v_cmp_eq_u64_e32 vcc_lo, v[12:13], v[14:15]
	v_mov_b64_e32 v[14:15], v[12:13]
	s_or_b32 s15, vcc_lo, s15
	s_delay_alu instid0(SALU_CYCLE_1)
	s_and_not1_b32 exec_lo, exec_lo, s15
	s_cbranch_execnz .LBB0_228
.LBB0_229:                              ;   in Loop: Header=BB0_4 Depth=1
	s_or_b32 exec_lo, exec_lo, s14
	global_load_b64 v[12:13], v1, s[8:9] offset:16
	s_mov_b32 s15, exec_lo
	s_mov_b32 s14, exec_lo
	v_mbcnt_lo_u32_b32 v0, s15, 0
	s_wait_xcnt 0x0
	s_delay_alu instid0(VALU_DEP_1)
	v_cmpx_eq_u32_e32 0, v0
	s_cbranch_execz .LBB0_231
; %bb.230:                              ;   in Loop: Header=BB0_4 Depth=1
	s_bcnt1_i32_b32 s15, s15
	s_delay_alu instid0(SALU_CYCLE_1)
	v_mov_b32_e32 v0, s15
	global_wb scope:SCOPE_SYS
	s_wait_loadcnt 0x0
	s_wait_storecnt 0x0
	global_atomic_add_u64 v[12:13], v[0:1], off offset:8 scope:SCOPE_SYS
.LBB0_231:                              ;   in Loop: Header=BB0_4 Depth=1
	s_wait_xcnt 0x0
	s_or_b32 exec_lo, exec_lo, s14
	s_wait_loadcnt 0x0
	global_load_b64 v[14:15], v[12:13], off offset:16
	s_wait_loadcnt 0x0
	v_cmp_eq_u64_e32 vcc_lo, 0, v[14:15]
	s_cbranch_vccnz .LBB0_233
; %bb.232:                              ;   in Loop: Header=BB0_4 Depth=1
	global_load_b32 v0, v[12:13], off offset:24
	s_wait_loadcnt 0x0
	v_readfirstlane_b32 s14, v0
	global_wb scope:SCOPE_SYS
	s_wait_storecnt 0x0
	s_wait_xcnt 0x0
	global_store_b64 v[14:15], v[0:1], off scope:SCOPE_SYS
	s_and_b32 m0, s14, 0xffffff
	s_sendmsg sendmsg(MSG_INTERRUPT)
.LBB0_233:                              ;   in Loop: Header=BB0_4 Depth=1
	s_wait_xcnt 0x0
	s_or_b32 exec_lo, exec_lo, s1
	s_branch .LBB0_237
.LBB0_234:                              ;   in Loop: Header=BB0_237 Depth=2
	s_wait_xcnt 0x0
	s_or_b32 exec_lo, exec_lo, s1
	s_delay_alu instid0(VALU_DEP_1)
	v_readfirstlane_b32 s1, v0
	s_cmp_eq_u32 s1, 0
	s_cbranch_scc1 .LBB0_236
; %bb.235:                              ;   in Loop: Header=BB0_237 Depth=2
	s_sleep 1
	s_cbranch_execnz .LBB0_237
	s_branch .LBB0_239
.LBB0_236:                              ;   in Loop: Header=BB0_4 Depth=1
	s_branch .LBB0_239
.LBB0_237:                              ;   Parent Loop BB0_4 Depth=1
                                        ; =>  This Inner Loop Header: Depth=2
	v_mov_b32_e32 v0, 1
	s_and_saveexec_b32 s1, s0
	s_cbranch_execz .LBB0_234
; %bb.238:                              ;   in Loop: Header=BB0_237 Depth=2
	global_load_b32 v0, v[20:21], off offset:20 scope:SCOPE_SYS
	s_wait_loadcnt 0x0
	global_inv scope:SCOPE_SYS
	v_and_b32_e32 v0, 1, v0
	s_branch .LBB0_234
.LBB0_239:                              ;   in Loop: Header=BB0_4 Depth=1
	s_and_saveexec_b32 s14, s0
	s_cbranch_execz .LBB0_2
; %bb.240:                              ;   in Loop: Header=BB0_4 Depth=1
	s_clause 0x2
	global_load_b64 v[12:13], v1, s[8:9] offset:40
	global_load_b64 v[20:21], v1, s[8:9] offset:24 scope:SCOPE_SYS
	global_load_b64 v[14:15], v1, s[8:9]
	s_wait_loadcnt 0x2
	v_readfirstlane_b32 s16, v12
	v_readfirstlane_b32 s17, v13
	s_add_nc_u64 s[0:1], s[16:17], 1
	s_delay_alu instid0(SALU_CYCLE_1) | instskip(NEXT) | instid1(SALU_CYCLE_1)
	s_add_nc_u64 s[12:13], s[0:1], s[12:13]
	s_cmp_eq_u64 s[12:13], 0
	s_cselect_b32 s1, s1, s13
	s_cselect_b32 s0, s0, s12
	s_delay_alu instid0(SALU_CYCLE_1) | instskip(SKIP_1) | instid1(SALU_CYCLE_1)
	v_dual_mov_b32 v19, s1 :: v_dual_mov_b32 v18, s0
	s_and_b64 s[12:13], s[0:1], s[16:17]
	s_mul_u64 s[12:13], s[12:13], 24
	s_wait_loadcnt 0x0
	v_add_nc_u64_e32 v[16:17], s[12:13], v[14:15]
	global_store_b64 v[16:17], v[20:21], off
	global_wb scope:SCOPE_SYS
	s_wait_storecnt 0x0
	s_wait_xcnt 0x0
	global_atomic_cmpswap_b64 v[14:15], v1, v[18:21], s[8:9] offset:24 th:TH_ATOMIC_RETURN scope:SCOPE_SYS
	s_wait_loadcnt 0x0
	v_cmp_ne_u64_e32 vcc_lo, v[14:15], v[20:21]
	s_and_b32 exec_lo, exec_lo, vcc_lo
	s_cbranch_execz .LBB0_2
; %bb.241:                              ;   in Loop: Header=BB0_4 Depth=1
	s_mov_b32 s12, 0
.LBB0_242:                              ;   Parent Loop BB0_4 Depth=1
                                        ; =>  This Inner Loop Header: Depth=2
	v_dual_mov_b32 v12, s0 :: v_dual_mov_b32 v13, s1
	s_sleep 1
	global_store_b64 v[16:17], v[14:15], off
	global_wb scope:SCOPE_SYS
	s_wait_storecnt 0x0
	s_wait_xcnt 0x0
	global_atomic_cmpswap_b64 v[12:13], v1, v[12:15], s[8:9] offset:24 th:TH_ATOMIC_RETURN scope:SCOPE_SYS
	s_wait_loadcnt 0x0
	v_cmp_eq_u64_e32 vcc_lo, v[12:13], v[14:15]
	v_mov_b64_e32 v[14:15], v[12:13]
	s_or_b32 s12, vcc_lo, s12
	s_delay_alu instid0(SALU_CYCLE_1)
	s_and_not1_b32 exec_lo, exec_lo, s12
	s_cbranch_execnz .LBB0_242
	s_branch .LBB0_2
.LBB0_243:
	s_endpgm
	.section	.rodata,"a",@progbits
	.p2align	6, 0x0
	.amdhsa_kernel _ZN19hipPrintfStressTest22kernel_printf_conststrEj
		.amdhsa_group_segment_fixed_size 0
		.amdhsa_private_segment_fixed_size 0
		.amdhsa_kernarg_size 264
		.amdhsa_user_sgpr_count 2
		.amdhsa_user_sgpr_dispatch_ptr 0
		.amdhsa_user_sgpr_queue_ptr 0
		.amdhsa_user_sgpr_kernarg_segment_ptr 1
		.amdhsa_user_sgpr_dispatch_id 0
		.amdhsa_user_sgpr_kernarg_preload_length 0
		.amdhsa_user_sgpr_kernarg_preload_offset 0
		.amdhsa_user_sgpr_private_segment_size 0
		.amdhsa_wavefront_size32 1
		.amdhsa_uses_dynamic_stack 0
		.amdhsa_enable_private_segment 0
		.amdhsa_system_sgpr_workgroup_id_x 1
		.amdhsa_system_sgpr_workgroup_id_y 0
		.amdhsa_system_sgpr_workgroup_id_z 0
		.amdhsa_system_sgpr_workgroup_info 0
		.amdhsa_system_vgpr_workitem_id 0
		.amdhsa_next_free_vgpr 46
		.amdhsa_next_free_sgpr 30
		.amdhsa_named_barrier_count 0
		.amdhsa_reserve_vcc 1
		.amdhsa_float_round_mode_32 0
		.amdhsa_float_round_mode_16_64 0
		.amdhsa_float_denorm_mode_32 3
		.amdhsa_float_denorm_mode_16_64 3
		.amdhsa_fp16_overflow 0
		.amdhsa_memory_ordered 1
		.amdhsa_forward_progress 1
		.amdhsa_inst_pref_size 73
		.amdhsa_round_robin_scheduling 0
		.amdhsa_exception_fp_ieee_invalid_op 0
		.amdhsa_exception_fp_denorm_src 0
		.amdhsa_exception_fp_ieee_div_zero 0
		.amdhsa_exception_fp_ieee_overflow 0
		.amdhsa_exception_fp_ieee_underflow 0
		.amdhsa_exception_fp_ieee_inexact 0
		.amdhsa_exception_int_div_zero 0
	.end_amdhsa_kernel
	.text
.Lfunc_end0:
	.size	_ZN19hipPrintfStressTest22kernel_printf_conststrEj, .Lfunc_end0-_ZN19hipPrintfStressTest22kernel_printf_conststrEj
                                        ; -- End function
	.set _ZN19hipPrintfStressTest22kernel_printf_conststrEj.num_vgpr, 46
	.set _ZN19hipPrintfStressTest22kernel_printf_conststrEj.num_agpr, 0
	.set _ZN19hipPrintfStressTest22kernel_printf_conststrEj.numbered_sgpr, 30
	.set _ZN19hipPrintfStressTest22kernel_printf_conststrEj.num_named_barrier, 0
	.set _ZN19hipPrintfStressTest22kernel_printf_conststrEj.private_seg_size, 0
	.set _ZN19hipPrintfStressTest22kernel_printf_conststrEj.uses_vcc, 1
	.set _ZN19hipPrintfStressTest22kernel_printf_conststrEj.uses_flat_scratch, 0
	.set _ZN19hipPrintfStressTest22kernel_printf_conststrEj.has_dyn_sized_stack, 0
	.set _ZN19hipPrintfStressTest22kernel_printf_conststrEj.has_recursion, 0
	.set _ZN19hipPrintfStressTest22kernel_printf_conststrEj.has_indirect_call, 0
	.section	.AMDGPU.csdata,"",@progbits
; Kernel info:
; codeLenInByte = 9264
; TotalNumSgprs: 32
; NumVgprs: 46
; ScratchSize: 0
; MemoryBound: 0
; FloatMode: 240
; IeeeMode: 1
; LDSByteSize: 0 bytes/workgroup (compile time only)
; SGPRBlocks: 0
; VGPRBlocks: 2
; NumSGPRsForWavesPerEU: 32
; NumVGPRsForWavesPerEU: 46
; NamedBarCnt: 0
; Occupancy: 16
; WaveLimiterHint : 1
; COMPUTE_PGM_RSRC2:SCRATCH_EN: 0
; COMPUTE_PGM_RSRC2:USER_SGPR: 2
; COMPUTE_PGM_RSRC2:TRAP_HANDLER: 0
; COMPUTE_PGM_RSRC2:TGID_X_EN: 1
; COMPUTE_PGM_RSRC2:TGID_Y_EN: 0
; COMPUTE_PGM_RSRC2:TGID_Z_EN: 0
; COMPUTE_PGM_RSRC2:TIDIG_COMP_CNT: 0
	.text
	.protected	_ZN19hipPrintfStressTest32kernel_printf_two_conditionalstrEj ; -- Begin function _ZN19hipPrintfStressTest32kernel_printf_two_conditionalstrEj
	.globl	_ZN19hipPrintfStressTest32kernel_printf_two_conditionalstrEj
	.p2align	8
	.type	_ZN19hipPrintfStressTest32kernel_printf_two_conditionalstrEj,@function
_ZN19hipPrintfStressTest32kernel_printf_two_conditionalstrEj: ; @_ZN19hipPrintfStressTest32kernel_printf_two_conditionalstrEj
; %bb.0:
	s_clause 0x1
	s_load_b32 s2, s[0:1], 0x14
	s_load_b32 s24, s[0:1], 0x0
	s_bfe_u32 s3, ttmp6, 0x4000c
	s_getreg_b32 s4, hwreg(HW_REG_IB_STS2, 6, 4)
	s_add_co_i32 s3, s3, 1
	s_delay_alu instid0(SALU_CYCLE_1) | instskip(NEXT) | instid1(SALU_CYCLE_1)
	s_mul_i32 s3, ttmp9, s3
	s_add_co_i32 s3, ttmp6, s3
	s_cmp_eq_u32 s4, 0
	s_cselect_b32 s3, ttmp9, s3
	s_wait_kmcnt 0x0
	v_mad_u32 v0, s3, s2, v0
	s_cmp_lg_u32 s24, 0
	s_cselect_b32 s2, -1, 0
	s_delay_alu instid0(VALU_DEP_1) | instskip(NEXT) | instid1(VALU_DEP_1)
	v_and_b32_e32 v0, 1, v0
	v_cmp_eq_u32_e32 vcc_lo, 1, v0
	v_cndmask_b32_e64 v0, 0, 1, s2
	s_add_nc_u64 s[2:3], s[0:1], 8
	s_and_saveexec_b32 s0, vcc_lo
	s_delay_alu instid0(SALU_CYCLE_1)
	s_xor_b32 s25, exec_lo, s0
	s_cbranch_execz .LBB1_244
; %bb.1:
	v_cmp_ne_u32_e32 vcc_lo, 1, v0
                                        ; implicit-def: $vgpr0
	s_cbranch_vccnz .LBB1_244
; %bb.2:
	s_load_b64 s[10:11], s[2:3], 0x50
	v_mbcnt_lo_u32_b32 v34, -1, 0
	s_mov_b32 s4, 0
	v_mov_b32_e32 v1, 0
	s_mov_b32 s6, s4
	s_mov_b32 s7, s4
	v_lshlrev_b32_e32 v36, 6, v34
	s_mov_b32 s5, s4
	s_get_pc_i64 s[8:9]
	s_add_nc_u64 s[8:9], s[8:9], .str@rel64+4
	v_mov_b64_e32 v[10:11], s[6:7]
	v_mov_b64_e32 v[2:3], 0x100000002
	;; [unrolled: 1-line block ×3, first 2 shown]
	s_get_pc_i64 s[12:13]
	s_add_nc_u64 s[12:13], s[12:13], .str.3@rel64+4
	s_cmp_lg_u64 s[8:9], 0
	v_dual_mov_b32 v38, v36 :: v_dual_mov_b32 v39, v1
	v_dual_mov_b32 v4, 33 :: v_dual_mov_b32 v5, v1
	;; [unrolled: 1-line block ×3, first 2 shown]
	s_cselect_b32 s26, -1, 0
	s_cmp_lg_u64 s[12:13], 0
	s_mov_b32 s28, s4
	s_cselect_b32 s27, -1, 0
	s_branch .LBB1_5
.LBB1_3:                                ;   in Loop: Header=BB1_5 Depth=1
	s_or_b32 exec_lo, exec_lo, s16
.LBB1_4:                                ;   in Loop: Header=BB1_5 Depth=1
	s_add_co_i32 s28, s28, 1
                                        ; implicit-def: $vgpr0
	s_delay_alu instid0(SALU_CYCLE_1)
	s_cmp_lg_u32 s28, s24
	s_cbranch_scc0 .LBB1_244
.LBB1_5:                                ; =>This Loop Header: Depth=1
                                        ;     Child Loop BB1_8 Depth 2
                                        ;     Child Loop BB1_16 Depth 2
	;; [unrolled: 1-line block ×9, first 2 shown]
                                        ;       Child Loop BB1_37 Depth 3
                                        ;       Child Loop BB1_44 Depth 3
	;; [unrolled: 1-line block ×11, first 2 shown]
                                        ;     Child Loop BB1_221 Depth 2
                                        ;     Child Loop BB1_229 Depth 2
	;; [unrolled: 1-line block ×5, first 2 shown]
                                        ;       Child Loop BB1_116 Depth 3
                                        ;       Child Loop BB1_123 Depth 3
	;; [unrolled: 1-line block ×11, first 2 shown]
	v_readfirstlane_b32 s0, v34
	s_wait_loadcnt 0x0
	v_mov_b64_e32 v[16:17], 0
	s_delay_alu instid0(VALU_DEP_2)
	v_cmp_eq_u32_e64 s0, s0, v34
	s_and_saveexec_b32 s1, s0
	s_cbranch_execz .LBB1_11
; %bb.6:                                ;   in Loop: Header=BB1_5 Depth=1
	s_wait_kmcnt 0x0
	global_load_b64 v[14:15], v1, s[10:11] offset:24 scope:SCOPE_SYS
	s_wait_loadcnt 0x0
	global_inv scope:SCOPE_SYS
	s_clause 0x1
	global_load_b64 v[12:13], v1, s[10:11] offset:40
	global_load_b64 v[16:17], v1, s[10:11]
	s_mov_b32 s14, exec_lo
	s_wait_loadcnt 0x1
	v_and_b32_e32 v12, v12, v14
	v_and_b32_e32 v13, v13, v15
	s_delay_alu instid0(VALU_DEP_1) | instskip(SKIP_1) | instid1(VALU_DEP_1)
	v_mul_u64_e32 v[12:13], 24, v[12:13]
	s_wait_loadcnt 0x0
	v_add_nc_u64_e32 v[12:13], v[16:17], v[12:13]
	global_load_b64 v[12:13], v[12:13], off scope:SCOPE_SYS
	s_wait_xcnt 0x0
	s_wait_loadcnt 0x0
	global_atomic_cmpswap_b64 v[16:17], v1, v[12:15], s[10:11] offset:24 th:TH_ATOMIC_RETURN scope:SCOPE_SYS
	s_wait_loadcnt 0x0
	global_inv scope:SCOPE_SYS
	s_wait_xcnt 0x0
	v_cmpx_ne_u64_e64 v[16:17], v[14:15]
	s_cbranch_execz .LBB1_10
; %bb.7:                                ;   in Loop: Header=BB1_5 Depth=1
	s_mov_b32 s15, 0
.LBB1_8:                                ;   Parent Loop BB1_5 Depth=1
                                        ; =>  This Inner Loop Header: Depth=2
	s_sleep 1
	s_clause 0x1
	global_load_b64 v[12:13], v1, s[10:11] offset:40
	global_load_b64 v[18:19], v1, s[10:11]
	v_mov_b64_e32 v[14:15], v[16:17]
	s_wait_loadcnt 0x1
	s_delay_alu instid0(VALU_DEP_1) | instskip(SKIP_1) | instid1(VALU_DEP_1)
	v_and_b32_e32 v0, v12, v14
	s_wait_loadcnt 0x0
	v_mad_nc_u64_u32 v[16:17], v0, 24, v[18:19]
	s_delay_alu instid0(VALU_DEP_3) | instskip(NEXT) | instid1(VALU_DEP_1)
	v_and_b32_e32 v0, v13, v15
	v_mad_u32 v17, v0, 24, v17
	global_load_b64 v[12:13], v[16:17], off scope:SCOPE_SYS
	s_wait_xcnt 0x0
	s_wait_loadcnt 0x0
	global_atomic_cmpswap_b64 v[16:17], v1, v[12:15], s[10:11] offset:24 th:TH_ATOMIC_RETURN scope:SCOPE_SYS
	s_wait_loadcnt 0x0
	global_inv scope:SCOPE_SYS
	v_cmp_eq_u64_e32 vcc_lo, v[16:17], v[14:15]
	s_or_b32 s15, vcc_lo, s15
	s_wait_xcnt 0x0
	s_and_not1_b32 exec_lo, exec_lo, s15
	s_cbranch_execnz .LBB1_8
; %bb.9:                                ;   in Loop: Header=BB1_5 Depth=1
	s_or_b32 exec_lo, exec_lo, s15
.LBB1_10:                               ;   in Loop: Header=BB1_5 Depth=1
	s_delay_alu instid0(SALU_CYCLE_1)
	s_or_b32 exec_lo, exec_lo, s14
.LBB1_11:                               ;   in Loop: Header=BB1_5 Depth=1
	s_delay_alu instid0(SALU_CYCLE_1)
	s_or_b32 exec_lo, exec_lo, s1
	s_wait_kmcnt 0x0
	s_clause 0x1
	global_load_b64 v[18:19], v1, s[10:11] offset:40
	global_load_b128 v[12:15], v1, s[10:11]
	v_readfirstlane_b32 s14, v16
	v_readfirstlane_b32 s15, v17
	s_mov_b32 s1, exec_lo
	s_wait_loadcnt 0x1
	v_and_b32_e32 v18, s14, v18
	v_and_b32_e32 v19, s15, v19
	s_delay_alu instid0(VALU_DEP_1) | instskip(SKIP_1) | instid1(VALU_DEP_1)
	v_mul_u64_e32 v[16:17], 24, v[18:19]
	s_wait_loadcnt 0x0
	v_add_nc_u64_e32 v[16:17], v[12:13], v[16:17]
	s_wait_xcnt 0x0
	s_and_saveexec_b32 s16, s0
	s_cbranch_execz .LBB1_13
; %bb.12:                               ;   in Loop: Header=BB1_5 Depth=1
	v_mov_b32_e32 v0, s1
	global_store_b128 v[16:17], v[0:3], off offset:8
.LBB1_13:                               ;   in Loop: Header=BB1_5 Depth=1
	s_wait_xcnt 0x0
	s_or_b32 exec_lo, exec_lo, s16
	v_lshlrev_b64_e32 v[18:19], 12, v[18:19]
	s_delay_alu instid0(VALU_DEP_1) | instskip(NEXT) | instid1(VALU_DEP_1)
	v_add_nc_u64_e32 v[18:19], v[14:15], v[18:19]
	v_readfirstlane_b32 s16, v18
	s_delay_alu instid0(VALU_DEP_2)
	v_readfirstlane_b32 s17, v19
	s_clause 0x3
	global_store_b128 v36, v[4:7], s[16:17]
	global_store_b128 v36, v[8:11], s[16:17] offset:16
	global_store_b128 v36, v[8:11], s[16:17] offset:32
	;; [unrolled: 1-line block ×3, first 2 shown]
	s_wait_xcnt 0x0
	s_and_saveexec_b32 s1, s0
	s_cbranch_execz .LBB1_21
; %bb.14:                               ;   in Loop: Header=BB1_5 Depth=1
	s_clause 0x1
	global_load_b64 v[24:25], v1, s[10:11] offset:32 scope:SCOPE_SYS
	global_load_b64 v[14:15], v1, s[10:11] offset:40
	s_mov_b32 s16, exec_lo
	v_dual_mov_b32 v22, s14 :: v_dual_mov_b32 v23, s15
	s_wait_loadcnt 0x0
	v_and_b32_e32 v15, s15, v15
	v_and_b32_e32 v14, s14, v14
	s_delay_alu instid0(VALU_DEP_1) | instskip(NEXT) | instid1(VALU_DEP_1)
	v_mul_u64_e32 v[14:15], 24, v[14:15]
	v_add_nc_u64_e32 v[20:21], v[12:13], v[14:15]
	global_store_b64 v[20:21], v[24:25], off
	global_wb scope:SCOPE_SYS
	s_wait_storecnt 0x0
	s_wait_xcnt 0x0
	global_atomic_cmpswap_b64 v[14:15], v1, v[22:25], s[10:11] offset:32 th:TH_ATOMIC_RETURN scope:SCOPE_SYS
	s_wait_loadcnt 0x0
	v_cmpx_ne_u64_e64 v[14:15], v[24:25]
	s_cbranch_execz .LBB1_17
; %bb.15:                               ;   in Loop: Header=BB1_5 Depth=1
	s_mov_b32 s17, 0
.LBB1_16:                               ;   Parent Loop BB1_5 Depth=1
                                        ; =>  This Inner Loop Header: Depth=2
	v_dual_mov_b32 v12, s14 :: v_dual_mov_b32 v13, s15
	s_sleep 1
	global_store_b64 v[20:21], v[14:15], off
	global_wb scope:SCOPE_SYS
	s_wait_storecnt 0x0
	s_wait_xcnt 0x0
	global_atomic_cmpswap_b64 v[12:13], v1, v[12:15], s[10:11] offset:32 th:TH_ATOMIC_RETURN scope:SCOPE_SYS
	s_wait_loadcnt 0x0
	v_cmp_eq_u64_e32 vcc_lo, v[12:13], v[14:15]
	v_mov_b64_e32 v[14:15], v[12:13]
	s_or_b32 s17, vcc_lo, s17
	s_delay_alu instid0(SALU_CYCLE_1)
	s_and_not1_b32 exec_lo, exec_lo, s17
	s_cbranch_execnz .LBB1_16
.LBB1_17:                               ;   in Loop: Header=BB1_5 Depth=1
	s_or_b32 exec_lo, exec_lo, s16
	global_load_b64 v[12:13], v1, s[10:11] offset:16
	s_mov_b32 s17, exec_lo
	s_mov_b32 s16, exec_lo
	v_mbcnt_lo_u32_b32 v0, s17, 0
	s_wait_xcnt 0x0
	s_delay_alu instid0(VALU_DEP_1)
	v_cmpx_eq_u32_e32 0, v0
	s_cbranch_execz .LBB1_19
; %bb.18:                               ;   in Loop: Header=BB1_5 Depth=1
	s_bcnt1_i32_b32 s17, s17
	s_delay_alu instid0(SALU_CYCLE_1)
	v_mov_b32_e32 v0, s17
	global_wb scope:SCOPE_SYS
	s_wait_loadcnt 0x0
	s_wait_storecnt 0x0
	global_atomic_add_u64 v[12:13], v[0:1], off offset:8 scope:SCOPE_SYS
.LBB1_19:                               ;   in Loop: Header=BB1_5 Depth=1
	s_wait_xcnt 0x0
	s_or_b32 exec_lo, exec_lo, s16
	s_wait_loadcnt 0x0
	global_load_b64 v[14:15], v[12:13], off offset:16
	s_wait_loadcnt 0x0
	v_cmp_eq_u64_e32 vcc_lo, 0, v[14:15]
	s_cbranch_vccnz .LBB1_21
; %bb.20:                               ;   in Loop: Header=BB1_5 Depth=1
	global_load_b32 v0, v[12:13], off offset:24
	s_wait_loadcnt 0x0
	v_readfirstlane_b32 s16, v0
	global_wb scope:SCOPE_SYS
	s_wait_storecnt 0x0
	s_wait_xcnt 0x0
	global_store_b64 v[14:15], v[0:1], off scope:SCOPE_SYS
	s_and_b32 m0, s16, 0xffffff
	s_sendmsg sendmsg(MSG_INTERRUPT)
.LBB1_21:                               ;   in Loop: Header=BB1_5 Depth=1
	s_wait_xcnt 0x0
	s_or_b32 exec_lo, exec_lo, s1
	v_add_nc_u64_e32 v[12:13], v[18:19], v[38:39]
	s_branch .LBB1_25
.LBB1_22:                               ;   in Loop: Header=BB1_25 Depth=2
	s_wait_xcnt 0x0
	s_or_b32 exec_lo, exec_lo, s1
	s_delay_alu instid0(VALU_DEP_1)
	v_readfirstlane_b32 s1, v0
	s_cmp_eq_u32 s1, 0
	s_cbranch_scc1 .LBB1_24
; %bb.23:                               ;   in Loop: Header=BB1_25 Depth=2
	s_sleep 1
	s_cbranch_execnz .LBB1_25
	s_branch .LBB1_27
.LBB1_24:                               ;   in Loop: Header=BB1_5 Depth=1
	s_branch .LBB1_27
.LBB1_25:                               ;   Parent Loop BB1_5 Depth=1
                                        ; =>  This Inner Loop Header: Depth=2
	v_mov_b32_e32 v0, 1
	s_and_saveexec_b32 s1, s0
	s_cbranch_execz .LBB1_22
; %bb.26:                               ;   in Loop: Header=BB1_25 Depth=2
	global_load_b32 v0, v[16:17], off offset:20 scope:SCOPE_SYS
	s_wait_loadcnt 0x0
	global_inv scope:SCOPE_SYS
	v_and_b32_e32 v0, 1, v0
	s_branch .LBB1_22
.LBB1_27:                               ;   in Loop: Header=BB1_5 Depth=1
	global_load_b64 v[16:17], v[12:13], off
	s_wait_xcnt 0x0
	s_and_saveexec_b32 s16, s0
	s_cbranch_execz .LBB1_31
; %bb.28:                               ;   in Loop: Header=BB1_5 Depth=1
	s_clause 0x2
	global_load_b64 v[12:13], v1, s[10:11] offset:40
	global_load_b64 v[22:23], v1, s[10:11] offset:24 scope:SCOPE_SYS
	global_load_b64 v[14:15], v1, s[10:11]
	s_wait_loadcnt 0x2
	v_readfirstlane_b32 s18, v12
	v_readfirstlane_b32 s19, v13
	s_add_nc_u64 s[0:1], s[18:19], 1
	s_delay_alu instid0(SALU_CYCLE_1) | instskip(NEXT) | instid1(SALU_CYCLE_1)
	s_add_nc_u64 s[14:15], s[0:1], s[14:15]
	s_cmp_eq_u64 s[14:15], 0
	s_cselect_b32 s1, s1, s15
	s_cselect_b32 s0, s0, s14
	s_delay_alu instid0(SALU_CYCLE_1) | instskip(SKIP_1) | instid1(SALU_CYCLE_1)
	v_dual_mov_b32 v21, s1 :: v_dual_mov_b32 v20, s0
	s_and_b64 s[14:15], s[0:1], s[18:19]
	s_mul_u64 s[14:15], s[14:15], 24
	s_wait_loadcnt 0x0
	v_add_nc_u64_e32 v[18:19], s[14:15], v[14:15]
	global_store_b64 v[18:19], v[22:23], off
	global_wb scope:SCOPE_SYS
	s_wait_storecnt 0x0
	s_wait_xcnt 0x0
	global_atomic_cmpswap_b64 v[14:15], v1, v[20:23], s[10:11] offset:24 th:TH_ATOMIC_RETURN scope:SCOPE_SYS
	s_wait_loadcnt 0x0
	v_cmp_ne_u64_e32 vcc_lo, v[14:15], v[22:23]
	s_and_b32 exec_lo, exec_lo, vcc_lo
	s_cbranch_execz .LBB1_31
; %bb.29:                               ;   in Loop: Header=BB1_5 Depth=1
	s_mov_b32 s14, 0
.LBB1_30:                               ;   Parent Loop BB1_5 Depth=1
                                        ; =>  This Inner Loop Header: Depth=2
	v_dual_mov_b32 v12, s0 :: v_dual_mov_b32 v13, s1
	s_sleep 1
	global_store_b64 v[18:19], v[14:15], off
	global_wb scope:SCOPE_SYS
	s_wait_storecnt 0x0
	s_wait_xcnt 0x0
	global_atomic_cmpswap_b64 v[12:13], v1, v[12:15], s[10:11] offset:24 th:TH_ATOMIC_RETURN scope:SCOPE_SYS
	s_wait_loadcnt 0x0
	v_cmp_eq_u64_e32 vcc_lo, v[12:13], v[14:15]
	v_mov_b64_e32 v[14:15], v[12:13]
	s_or_b32 s14, vcc_lo, s14
	s_delay_alu instid0(SALU_CYCLE_1)
	s_and_not1_b32 exec_lo, exec_lo, s14
	s_cbranch_execnz .LBB1_30
.LBB1_31:                               ;   in Loop: Header=BB1_5 Depth=1
	s_or_b32 exec_lo, exec_lo, s16
	s_delay_alu instid0(SALU_CYCLE_1)
	s_and_b32 vcc_lo, exec_lo, s26
	s_cbranch_vccz .LBB1_189
; %bb.32:                               ;   in Loop: Header=BB1_5 Depth=1
	s_wait_loadcnt 0x0
	v_dual_mov_b32 v13, v17 :: v_dual_bitop2_b32 v40, 2, v16 bitop3:0x40
	v_and_b32_e32 v12, -3, v16
	s_mov_b64 s[14:15], 3
	s_mov_b64 s[16:17], s[8:9]
	s_branch .LBB1_34
.LBB1_33:                               ;   in Loop: Header=BB1_34 Depth=2
	s_or_b32 exec_lo, exec_lo, s22
	s_sub_nc_u64 s[14:15], s[14:15], s[18:19]
	s_add_nc_u64 s[16:17], s[16:17], s[18:19]
	s_cmp_lg_u64 s[14:15], 0
	s_cbranch_scc0 .LBB1_109
.LBB1_34:                               ;   Parent Loop BB1_5 Depth=1
                                        ; =>  This Loop Header: Depth=2
                                        ;       Child Loop BB1_37 Depth 3
                                        ;       Child Loop BB1_44 Depth 3
	;; [unrolled: 1-line block ×11, first 2 shown]
	v_min_u64 v[14:15], s[14:15], 56
	v_cmp_gt_u64_e64 s0, s[14:15], 7
	s_and_b32 vcc_lo, exec_lo, s0
	v_readfirstlane_b32 s18, v14
	v_readfirstlane_b32 s19, v15
	s_cbranch_vccnz .LBB1_39
; %bb.35:                               ;   in Loop: Header=BB1_34 Depth=2
	v_mov_b64_e32 v[14:15], 0
	s_cmp_eq_u64 s[14:15], 0
	s_cbranch_scc1 .LBB1_38
; %bb.36:                               ;   in Loop: Header=BB1_34 Depth=2
	s_mov_b64 s[0:1], 0
	s_mov_b64 s[20:21], 0
.LBB1_37:                               ;   Parent Loop BB1_5 Depth=1
                                        ;     Parent Loop BB1_34 Depth=2
                                        ; =>    This Inner Loop Header: Depth=3
	s_wait_xcnt 0x0
	s_add_nc_u64 s[22:23], s[16:17], s[20:21]
	s_add_nc_u64 s[20:21], s[20:21], 1
	global_load_u8 v0, v1, s[22:23]
	s_cmp_lg_u32 s18, s20
	s_wait_loadcnt 0x0
	v_and_b32_e32 v0, 0xffff, v0
	s_delay_alu instid0(VALU_DEP_1) | instskip(SKIP_1) | instid1(VALU_DEP_1)
	v_lshlrev_b64_e32 v[18:19], s0, v[0:1]
	s_add_nc_u64 s[0:1], s[0:1], 8
	v_or_b32_e32 v14, v18, v14
	s_delay_alu instid0(VALU_DEP_2)
	v_or_b32_e32 v15, v19, v15
	s_cbranch_scc1 .LBB1_37
.LBB1_38:                               ;   in Loop: Header=BB1_34 Depth=2
	s_mov_b64 s[0:1], s[16:17]
	s_mov_b32 s29, 0
	s_cbranch_execz .LBB1_40
	s_branch .LBB1_41
.LBB1_39:                               ;   in Loop: Header=BB1_34 Depth=2
	s_add_nc_u64 s[0:1], s[16:17], 8
	s_mov_b32 s29, 0
.LBB1_40:                               ;   in Loop: Header=BB1_34 Depth=2
	global_load_b64 v[14:15], v1, s[16:17]
	s_add_co_i32 s29, s18, -8
.LBB1_41:                               ;   in Loop: Header=BB1_34 Depth=2
	s_delay_alu instid0(SALU_CYCLE_1)
	s_cmp_gt_u32 s29, 7
	s_cbranch_scc1 .LBB1_46
; %bb.42:                               ;   in Loop: Header=BB1_34 Depth=2
	v_mov_b64_e32 v[18:19], 0
	s_cmp_eq_u32 s29, 0
	s_cbranch_scc1 .LBB1_45
; %bb.43:                               ;   in Loop: Header=BB1_34 Depth=2
	s_mov_b64 s[20:21], 0
	s_wait_xcnt 0x0
	s_mov_b64 s[22:23], 0
.LBB1_44:                               ;   Parent Loop BB1_5 Depth=1
                                        ;     Parent Loop BB1_34 Depth=2
                                        ; =>    This Inner Loop Header: Depth=3
	s_wait_xcnt 0x0
	s_add_nc_u64 s[30:31], s[0:1], s[22:23]
	s_add_nc_u64 s[22:23], s[22:23], 1
	global_load_u8 v0, v1, s[30:31]
	s_cmp_lg_u32 s29, s22
	s_wait_loadcnt 0x0
	v_and_b32_e32 v0, 0xffff, v0
	s_delay_alu instid0(VALU_DEP_1) | instskip(SKIP_1) | instid1(VALU_DEP_1)
	v_lshlrev_b64_e32 v[20:21], s20, v[0:1]
	s_add_nc_u64 s[20:21], s[20:21], 8
	v_or_b32_e32 v18, v20, v18
	s_delay_alu instid0(VALU_DEP_2)
	v_or_b32_e32 v19, v21, v19
	s_cbranch_scc1 .LBB1_44
.LBB1_45:                               ;   in Loop: Header=BB1_34 Depth=2
	s_wait_xcnt 0x0
	s_mov_b64 s[20:21], s[0:1]
	s_mov_b32 s30, 0
	s_cbranch_execz .LBB1_47
	s_branch .LBB1_48
.LBB1_46:                               ;   in Loop: Header=BB1_34 Depth=2
	s_add_nc_u64 s[20:21], s[0:1], 8
	s_wait_xcnt 0x0
                                        ; implicit-def: $vgpr18_vgpr19
	s_mov_b32 s30, 0
.LBB1_47:                               ;   in Loop: Header=BB1_34 Depth=2
	global_load_b64 v[18:19], v1, s[0:1]
	s_add_co_i32 s30, s29, -8
.LBB1_48:                               ;   in Loop: Header=BB1_34 Depth=2
	s_delay_alu instid0(SALU_CYCLE_1)
	s_cmp_gt_u32 s30, 7
	s_cbranch_scc1 .LBB1_53
; %bb.49:                               ;   in Loop: Header=BB1_34 Depth=2
	v_mov_b64_e32 v[20:21], 0
	s_cmp_eq_u32 s30, 0
	s_cbranch_scc1 .LBB1_52
; %bb.50:                               ;   in Loop: Header=BB1_34 Depth=2
	s_wait_xcnt 0x0
	s_mov_b64 s[0:1], 0
	s_mov_b64 s[22:23], 0
.LBB1_51:                               ;   Parent Loop BB1_5 Depth=1
                                        ;     Parent Loop BB1_34 Depth=2
                                        ; =>    This Inner Loop Header: Depth=3
	s_wait_xcnt 0x0
	s_add_nc_u64 s[34:35], s[20:21], s[22:23]
	s_add_nc_u64 s[22:23], s[22:23], 1
	global_load_u8 v0, v1, s[34:35]
	s_cmp_lg_u32 s30, s22
	s_wait_loadcnt 0x0
	v_and_b32_e32 v0, 0xffff, v0
	s_delay_alu instid0(VALU_DEP_1) | instskip(SKIP_1) | instid1(VALU_DEP_1)
	v_lshlrev_b64_e32 v[22:23], s0, v[0:1]
	s_add_nc_u64 s[0:1], s[0:1], 8
	v_or_b32_e32 v20, v22, v20
	s_delay_alu instid0(VALU_DEP_2)
	v_or_b32_e32 v21, v23, v21
	s_cbranch_scc1 .LBB1_51
.LBB1_52:                               ;   in Loop: Header=BB1_34 Depth=2
	s_wait_xcnt 0x0
	s_mov_b64 s[0:1], s[20:21]
	s_mov_b32 s29, 0
	s_cbranch_execz .LBB1_54
	s_branch .LBB1_55
.LBB1_53:                               ;   in Loop: Header=BB1_34 Depth=2
	s_wait_xcnt 0x0
	s_add_nc_u64 s[0:1], s[20:21], 8
	s_mov_b32 s29, 0
.LBB1_54:                               ;   in Loop: Header=BB1_34 Depth=2
	global_load_b64 v[20:21], v1, s[20:21]
	s_add_co_i32 s29, s30, -8
.LBB1_55:                               ;   in Loop: Header=BB1_34 Depth=2
	s_delay_alu instid0(SALU_CYCLE_1)
	s_cmp_gt_u32 s29, 7
	s_cbranch_scc1 .LBB1_60
; %bb.56:                               ;   in Loop: Header=BB1_34 Depth=2
	v_mov_b64_e32 v[22:23], 0
	s_cmp_eq_u32 s29, 0
	s_cbranch_scc1 .LBB1_59
; %bb.57:                               ;   in Loop: Header=BB1_34 Depth=2
	s_wait_xcnt 0x0
	s_mov_b64 s[20:21], 0
	s_mov_b64 s[22:23], 0
.LBB1_58:                               ;   Parent Loop BB1_5 Depth=1
                                        ;     Parent Loop BB1_34 Depth=2
                                        ; =>    This Inner Loop Header: Depth=3
	s_wait_xcnt 0x0
	s_add_nc_u64 s[30:31], s[0:1], s[22:23]
	s_add_nc_u64 s[22:23], s[22:23], 1
	global_load_u8 v0, v1, s[30:31]
	s_cmp_lg_u32 s29, s22
	s_wait_loadcnt 0x0
	v_and_b32_e32 v0, 0xffff, v0
	s_delay_alu instid0(VALU_DEP_1) | instskip(SKIP_1) | instid1(VALU_DEP_1)
	v_lshlrev_b64_e32 v[24:25], s20, v[0:1]
	s_add_nc_u64 s[20:21], s[20:21], 8
	v_or_b32_e32 v22, v24, v22
	s_delay_alu instid0(VALU_DEP_2)
	v_or_b32_e32 v23, v25, v23
	s_cbranch_scc1 .LBB1_58
.LBB1_59:                               ;   in Loop: Header=BB1_34 Depth=2
	s_wait_xcnt 0x0
	s_mov_b64 s[20:21], s[0:1]
	s_mov_b32 s30, 0
	s_cbranch_execz .LBB1_61
	s_branch .LBB1_62
.LBB1_60:                               ;   in Loop: Header=BB1_34 Depth=2
	s_wait_xcnt 0x0
	s_add_nc_u64 s[20:21], s[0:1], 8
                                        ; implicit-def: $vgpr22_vgpr23
	s_mov_b32 s30, 0
.LBB1_61:                               ;   in Loop: Header=BB1_34 Depth=2
	global_load_b64 v[22:23], v1, s[0:1]
	s_add_co_i32 s30, s29, -8
.LBB1_62:                               ;   in Loop: Header=BB1_34 Depth=2
	s_delay_alu instid0(SALU_CYCLE_1)
	s_cmp_gt_u32 s30, 7
	s_cbranch_scc1 .LBB1_67
; %bb.63:                               ;   in Loop: Header=BB1_34 Depth=2
	v_mov_b64_e32 v[24:25], 0
	s_cmp_eq_u32 s30, 0
	s_cbranch_scc1 .LBB1_66
; %bb.64:                               ;   in Loop: Header=BB1_34 Depth=2
	s_wait_xcnt 0x0
	s_mov_b64 s[0:1], 0
	s_mov_b64 s[22:23], 0
.LBB1_65:                               ;   Parent Loop BB1_5 Depth=1
                                        ;     Parent Loop BB1_34 Depth=2
                                        ; =>    This Inner Loop Header: Depth=3
	s_wait_xcnt 0x0
	s_add_nc_u64 s[34:35], s[20:21], s[22:23]
	s_add_nc_u64 s[22:23], s[22:23], 1
	global_load_u8 v0, v1, s[34:35]
	s_cmp_lg_u32 s30, s22
	s_wait_loadcnt 0x0
	v_and_b32_e32 v0, 0xffff, v0
	s_delay_alu instid0(VALU_DEP_1) | instskip(SKIP_1) | instid1(VALU_DEP_1)
	v_lshlrev_b64_e32 v[26:27], s0, v[0:1]
	s_add_nc_u64 s[0:1], s[0:1], 8
	v_or_b32_e32 v24, v26, v24
	s_delay_alu instid0(VALU_DEP_2)
	v_or_b32_e32 v25, v27, v25
	s_cbranch_scc1 .LBB1_65
.LBB1_66:                               ;   in Loop: Header=BB1_34 Depth=2
	s_wait_xcnt 0x0
	s_mov_b64 s[0:1], s[20:21]
	s_mov_b32 s29, 0
	s_cbranch_execz .LBB1_68
	s_branch .LBB1_69
.LBB1_67:                               ;   in Loop: Header=BB1_34 Depth=2
	s_wait_xcnt 0x0
	s_add_nc_u64 s[0:1], s[20:21], 8
	s_mov_b32 s29, 0
.LBB1_68:                               ;   in Loop: Header=BB1_34 Depth=2
	global_load_b64 v[24:25], v1, s[20:21]
	s_add_co_i32 s29, s30, -8
.LBB1_69:                               ;   in Loop: Header=BB1_34 Depth=2
	s_delay_alu instid0(SALU_CYCLE_1)
	s_cmp_gt_u32 s29, 7
	s_cbranch_scc1 .LBB1_74
; %bb.70:                               ;   in Loop: Header=BB1_34 Depth=2
	v_mov_b64_e32 v[26:27], 0
	s_cmp_eq_u32 s29, 0
	s_cbranch_scc1 .LBB1_73
; %bb.71:                               ;   in Loop: Header=BB1_34 Depth=2
	s_wait_xcnt 0x0
	s_mov_b64 s[20:21], 0
	s_mov_b64 s[22:23], 0
.LBB1_72:                               ;   Parent Loop BB1_5 Depth=1
                                        ;     Parent Loop BB1_34 Depth=2
                                        ; =>    This Inner Loop Header: Depth=3
	s_wait_xcnt 0x0
	s_add_nc_u64 s[30:31], s[0:1], s[22:23]
	s_add_nc_u64 s[22:23], s[22:23], 1
	global_load_u8 v0, v1, s[30:31]
	s_cmp_lg_u32 s29, s22
	s_wait_loadcnt 0x0
	v_and_b32_e32 v0, 0xffff, v0
	s_delay_alu instid0(VALU_DEP_1) | instskip(SKIP_1) | instid1(VALU_DEP_1)
	v_lshlrev_b64_e32 v[28:29], s20, v[0:1]
	s_add_nc_u64 s[20:21], s[20:21], 8
	v_or_b32_e32 v26, v28, v26
	s_delay_alu instid0(VALU_DEP_2)
	v_or_b32_e32 v27, v29, v27
	s_cbranch_scc1 .LBB1_72
.LBB1_73:                               ;   in Loop: Header=BB1_34 Depth=2
	s_wait_xcnt 0x0
	s_mov_b64 s[20:21], s[0:1]
	s_mov_b32 s30, 0
	s_cbranch_execz .LBB1_75
	s_branch .LBB1_76
.LBB1_74:                               ;   in Loop: Header=BB1_34 Depth=2
	s_wait_xcnt 0x0
	s_add_nc_u64 s[20:21], s[0:1], 8
                                        ; implicit-def: $vgpr26_vgpr27
	s_mov_b32 s30, 0
.LBB1_75:                               ;   in Loop: Header=BB1_34 Depth=2
	global_load_b64 v[26:27], v1, s[0:1]
	s_add_co_i32 s30, s29, -8
.LBB1_76:                               ;   in Loop: Header=BB1_34 Depth=2
	s_delay_alu instid0(SALU_CYCLE_1)
	s_cmp_gt_u32 s30, 7
	s_cbranch_scc1 .LBB1_81
; %bb.77:                               ;   in Loop: Header=BB1_34 Depth=2
	v_mov_b64_e32 v[28:29], 0
	s_cmp_eq_u32 s30, 0
	s_cbranch_scc1 .LBB1_80
; %bb.78:                               ;   in Loop: Header=BB1_34 Depth=2
	s_wait_xcnt 0x0
	s_mov_b64 s[0:1], 0
	s_mov_b64 s[22:23], s[20:21]
.LBB1_79:                               ;   Parent Loop BB1_5 Depth=1
                                        ;     Parent Loop BB1_34 Depth=2
                                        ; =>    This Inner Loop Header: Depth=3
	global_load_u8 v0, v1, s[22:23]
	s_add_co_i32 s30, s30, -1
	s_wait_xcnt 0x0
	s_add_nc_u64 s[22:23], s[22:23], 1
	s_cmp_lg_u32 s30, 0
	s_wait_loadcnt 0x0
	v_and_b32_e32 v0, 0xffff, v0
	s_delay_alu instid0(VALU_DEP_1) | instskip(SKIP_1) | instid1(VALU_DEP_1)
	v_lshlrev_b64_e32 v[30:31], s0, v[0:1]
	s_add_nc_u64 s[0:1], s[0:1], 8
	v_or_b32_e32 v28, v30, v28
	s_delay_alu instid0(VALU_DEP_2)
	v_or_b32_e32 v29, v31, v29
	s_cbranch_scc1 .LBB1_79
.LBB1_80:                               ;   in Loop: Header=BB1_34 Depth=2
	s_wait_xcnt 0x0
	s_cbranch_execz .LBB1_82
	s_branch .LBB1_83
.LBB1_81:                               ;   in Loop: Header=BB1_34 Depth=2
	s_wait_xcnt 0x0
.LBB1_82:                               ;   in Loop: Header=BB1_34 Depth=2
	global_load_b64 v[28:29], v1, s[20:21]
.LBB1_83:                               ;   in Loop: Header=BB1_34 Depth=2
	v_readfirstlane_b32 s0, v34
	v_mov_b64_e32 v[42:43], 0
	s_delay_alu instid0(VALU_DEP_2)
	v_cmp_eq_u32_e64 s0, s0, v34
	s_wait_xcnt 0x0
	s_and_saveexec_b32 s1, s0
	s_cbranch_execz .LBB1_89
; %bb.84:                               ;   in Loop: Header=BB1_34 Depth=2
	global_load_b64 v[32:33], v1, s[10:11] offset:24 scope:SCOPE_SYS
	s_wait_loadcnt 0x0
	global_inv scope:SCOPE_SYS
	s_clause 0x1
	global_load_b64 v[30:31], v1, s[10:11] offset:40
	global_load_b64 v[42:43], v1, s[10:11]
	s_mov_b32 s20, exec_lo
	s_wait_loadcnt 0x1
	v_and_b32_e32 v30, v30, v32
	v_and_b32_e32 v31, v31, v33
	s_delay_alu instid0(VALU_DEP_1) | instskip(SKIP_1) | instid1(VALU_DEP_1)
	v_mul_u64_e32 v[30:31], 24, v[30:31]
	s_wait_loadcnt 0x0
	v_add_nc_u64_e32 v[30:31], v[42:43], v[30:31]
	global_load_b64 v[30:31], v[30:31], off scope:SCOPE_SYS
	s_wait_xcnt 0x0
	s_wait_loadcnt 0x0
	global_atomic_cmpswap_b64 v[42:43], v1, v[30:33], s[10:11] offset:24 th:TH_ATOMIC_RETURN scope:SCOPE_SYS
	s_wait_loadcnt 0x0
	global_inv scope:SCOPE_SYS
	s_wait_xcnt 0x0
	v_cmpx_ne_u64_e64 v[42:43], v[32:33]
	s_cbranch_execz .LBB1_88
; %bb.85:                               ;   in Loop: Header=BB1_34 Depth=2
	s_mov_b32 s21, 0
.LBB1_86:                               ;   Parent Loop BB1_5 Depth=1
                                        ;     Parent Loop BB1_34 Depth=2
                                        ; =>    This Inner Loop Header: Depth=3
	s_sleep 1
	s_clause 0x1
	global_load_b64 v[30:31], v1, s[10:11] offset:40
	global_load_b64 v[44:45], v1, s[10:11]
	v_mov_b64_e32 v[32:33], v[42:43]
	s_wait_loadcnt 0x1
	s_delay_alu instid0(VALU_DEP_1) | instskip(SKIP_1) | instid1(VALU_DEP_1)
	v_and_b32_e32 v0, v30, v32
	s_wait_loadcnt 0x0
	v_mad_nc_u64_u32 v[42:43], v0, 24, v[44:45]
	s_delay_alu instid0(VALU_DEP_3) | instskip(NEXT) | instid1(VALU_DEP_1)
	v_and_b32_e32 v0, v31, v33
	v_mad_u32 v43, v0, 24, v43
	global_load_b64 v[30:31], v[42:43], off scope:SCOPE_SYS
	s_wait_xcnt 0x0
	s_wait_loadcnt 0x0
	global_atomic_cmpswap_b64 v[42:43], v1, v[30:33], s[10:11] offset:24 th:TH_ATOMIC_RETURN scope:SCOPE_SYS
	s_wait_loadcnt 0x0
	global_inv scope:SCOPE_SYS
	v_cmp_eq_u64_e32 vcc_lo, v[42:43], v[32:33]
	s_or_b32 s21, vcc_lo, s21
	s_wait_xcnt 0x0
	s_and_not1_b32 exec_lo, exec_lo, s21
	s_cbranch_execnz .LBB1_86
; %bb.87:                               ;   in Loop: Header=BB1_34 Depth=2
	s_or_b32 exec_lo, exec_lo, s21
.LBB1_88:                               ;   in Loop: Header=BB1_34 Depth=2
	s_delay_alu instid0(SALU_CYCLE_1)
	s_or_b32 exec_lo, exec_lo, s20
.LBB1_89:                               ;   in Loop: Header=BB1_34 Depth=2
	s_delay_alu instid0(SALU_CYCLE_1)
	s_or_b32 exec_lo, exec_lo, s1
	s_clause 0x1
	global_load_b64 v[44:45], v1, s[10:11] offset:40
	global_load_b128 v[30:33], v1, s[10:11]
	v_readfirstlane_b32 s20, v42
	v_readfirstlane_b32 s21, v43
	s_mov_b32 s1, exec_lo
	s_wait_loadcnt 0x1
	v_and_b32_e32 v44, s20, v44
	v_and_b32_e32 v45, s21, v45
	s_delay_alu instid0(VALU_DEP_1) | instskip(SKIP_1) | instid1(VALU_DEP_1)
	v_mul_u64_e32 v[42:43], 24, v[44:45]
	s_wait_loadcnt 0x0
	v_add_nc_u64_e32 v[42:43], v[30:31], v[42:43]
	s_wait_xcnt 0x0
	s_and_saveexec_b32 s22, s0
	s_cbranch_execz .LBB1_91
; %bb.90:                               ;   in Loop: Header=BB1_34 Depth=2
	v_mov_b32_e32 v0, s1
	global_store_b128 v[42:43], v[0:3], off offset:8
.LBB1_91:                               ;   in Loop: Header=BB1_34 Depth=2
	s_wait_xcnt 0x0
	s_or_b32 exec_lo, exec_lo, s22
	v_cmp_lt_u64_e64 vcc_lo, s[14:15], 57
	v_lshlrev_b64_e32 v[44:45], 12, v[44:45]
	v_and_b32_e32 v12, 0xffffff1f, v12
	s_lshl_b32 s1, s18, 2
	s_delay_alu instid0(SALU_CYCLE_1) | instskip(SKIP_1) | instid1(VALU_DEP_3)
	s_add_co_i32 s1, s1, 28
	v_cndmask_b32_e32 v0, 0, v40, vcc_lo
	v_add_nc_u64_e32 v[32:33], v[32:33], v[44:45]
	s_delay_alu instid0(VALU_DEP_2) | instskip(NEXT) | instid1(VALU_DEP_2)
	v_or_b32_e32 v0, v12, v0
	v_readfirstlane_b32 s22, v32
	s_delay_alu instid0(VALU_DEP_3) | instskip(NEXT) | instid1(VALU_DEP_3)
	v_readfirstlane_b32 s23, v33
	v_and_or_b32 v12, 0x1e0, s1, v0
	s_clause 0x3
	global_store_b128 v36, v[12:15], s[22:23]
	global_store_b128 v36, v[18:21], s[22:23] offset:16
	global_store_b128 v36, v[22:25], s[22:23] offset:32
	;; [unrolled: 1-line block ×3, first 2 shown]
	s_wait_xcnt 0x0
	s_and_saveexec_b32 s1, s0
	s_cbranch_execz .LBB1_99
; %bb.92:                               ;   in Loop: Header=BB1_34 Depth=2
	s_clause 0x1
	global_load_b64 v[22:23], v1, s[10:11] offset:32 scope:SCOPE_SYS
	global_load_b64 v[12:13], v1, s[10:11] offset:40
	s_mov_b32 s22, exec_lo
	v_dual_mov_b32 v20, s20 :: v_dual_mov_b32 v21, s21
	s_wait_loadcnt 0x0
	v_and_b32_e32 v13, s21, v13
	v_and_b32_e32 v12, s20, v12
	s_delay_alu instid0(VALU_DEP_1) | instskip(NEXT) | instid1(VALU_DEP_1)
	v_mul_u64_e32 v[12:13], 24, v[12:13]
	v_add_nc_u64_e32 v[18:19], v[30:31], v[12:13]
	global_store_b64 v[18:19], v[22:23], off
	global_wb scope:SCOPE_SYS
	s_wait_storecnt 0x0
	s_wait_xcnt 0x0
	global_atomic_cmpswap_b64 v[14:15], v1, v[20:23], s[10:11] offset:32 th:TH_ATOMIC_RETURN scope:SCOPE_SYS
	s_wait_loadcnt 0x0
	v_cmpx_ne_u64_e64 v[14:15], v[22:23]
	s_cbranch_execz .LBB1_95
; %bb.93:                               ;   in Loop: Header=BB1_34 Depth=2
	s_mov_b32 s23, 0
.LBB1_94:                               ;   Parent Loop BB1_5 Depth=1
                                        ;     Parent Loop BB1_34 Depth=2
                                        ; =>    This Inner Loop Header: Depth=3
	v_dual_mov_b32 v12, s20 :: v_dual_mov_b32 v13, s21
	s_sleep 1
	global_store_b64 v[18:19], v[14:15], off
	global_wb scope:SCOPE_SYS
	s_wait_storecnt 0x0
	s_wait_xcnt 0x0
	global_atomic_cmpswap_b64 v[12:13], v1, v[12:15], s[10:11] offset:32 th:TH_ATOMIC_RETURN scope:SCOPE_SYS
	s_wait_loadcnt 0x0
	v_cmp_eq_u64_e32 vcc_lo, v[12:13], v[14:15]
	v_mov_b64_e32 v[14:15], v[12:13]
	s_or_b32 s23, vcc_lo, s23
	s_delay_alu instid0(SALU_CYCLE_1)
	s_and_not1_b32 exec_lo, exec_lo, s23
	s_cbranch_execnz .LBB1_94
.LBB1_95:                               ;   in Loop: Header=BB1_34 Depth=2
	s_or_b32 exec_lo, exec_lo, s22
	global_load_b64 v[12:13], v1, s[10:11] offset:16
	s_mov_b32 s23, exec_lo
	s_mov_b32 s22, exec_lo
	v_mbcnt_lo_u32_b32 v0, s23, 0
	s_wait_xcnt 0x0
	s_delay_alu instid0(VALU_DEP_1)
	v_cmpx_eq_u32_e32 0, v0
	s_cbranch_execz .LBB1_97
; %bb.96:                               ;   in Loop: Header=BB1_34 Depth=2
	s_bcnt1_i32_b32 s23, s23
	s_delay_alu instid0(SALU_CYCLE_1)
	v_mov_b32_e32 v0, s23
	global_wb scope:SCOPE_SYS
	s_wait_loadcnt 0x0
	s_wait_storecnt 0x0
	global_atomic_add_u64 v[12:13], v[0:1], off offset:8 scope:SCOPE_SYS
.LBB1_97:                               ;   in Loop: Header=BB1_34 Depth=2
	s_wait_xcnt 0x0
	s_or_b32 exec_lo, exec_lo, s22
	s_wait_loadcnt 0x0
	global_load_b64 v[14:15], v[12:13], off offset:16
	s_wait_loadcnt 0x0
	v_cmp_eq_u64_e32 vcc_lo, 0, v[14:15]
	s_cbranch_vccnz .LBB1_99
; %bb.98:                               ;   in Loop: Header=BB1_34 Depth=2
	global_load_b32 v0, v[12:13], off offset:24
	s_wait_loadcnt 0x0
	v_readfirstlane_b32 s22, v0
	global_wb scope:SCOPE_SYS
	s_wait_storecnt 0x0
	s_wait_xcnt 0x0
	global_store_b64 v[14:15], v[0:1], off scope:SCOPE_SYS
	s_and_b32 m0, s22, 0xffffff
	s_sendmsg sendmsg(MSG_INTERRUPT)
.LBB1_99:                               ;   in Loop: Header=BB1_34 Depth=2
	s_wait_xcnt 0x0
	s_or_b32 exec_lo, exec_lo, s1
	v_mov_b32_e32 v37, v1
	s_delay_alu instid0(VALU_DEP_1)
	v_add_nc_u64_e32 v[12:13], v[32:33], v[36:37]
	s_branch .LBB1_103
.LBB1_100:                              ;   in Loop: Header=BB1_103 Depth=3
	s_wait_xcnt 0x0
	s_or_b32 exec_lo, exec_lo, s1
	s_delay_alu instid0(VALU_DEP_1)
	v_readfirstlane_b32 s1, v0
	s_cmp_eq_u32 s1, 0
	s_cbranch_scc1 .LBB1_102
; %bb.101:                              ;   in Loop: Header=BB1_103 Depth=3
	s_sleep 1
	s_cbranch_execnz .LBB1_103
	s_branch .LBB1_105
.LBB1_102:                              ;   in Loop: Header=BB1_34 Depth=2
	s_branch .LBB1_105
.LBB1_103:                              ;   Parent Loop BB1_5 Depth=1
                                        ;     Parent Loop BB1_34 Depth=2
                                        ; =>    This Inner Loop Header: Depth=3
	v_mov_b32_e32 v0, 1
	s_and_saveexec_b32 s1, s0
	s_cbranch_execz .LBB1_100
; %bb.104:                              ;   in Loop: Header=BB1_103 Depth=3
	global_load_b32 v0, v[42:43], off offset:20 scope:SCOPE_SYS
	s_wait_loadcnt 0x0
	global_inv scope:SCOPE_SYS
	v_and_b32_e32 v0, 1, v0
	s_branch .LBB1_100
.LBB1_105:                              ;   in Loop: Header=BB1_34 Depth=2
	global_load_b64 v[12:13], v[12:13], off
	s_wait_xcnt 0x0
	s_and_saveexec_b32 s22, s0
	s_cbranch_execz .LBB1_33
; %bb.106:                              ;   in Loop: Header=BB1_34 Depth=2
	s_clause 0x2
	global_load_b64 v[14:15], v1, s[10:11] offset:40
	global_load_b64 v[22:23], v1, s[10:11] offset:24 scope:SCOPE_SYS
	global_load_b64 v[18:19], v1, s[10:11]
	s_wait_loadcnt 0x2
	v_readfirstlane_b32 s30, v14
	v_readfirstlane_b32 s31, v15
	s_add_nc_u64 s[0:1], s[30:31], 1
	s_delay_alu instid0(SALU_CYCLE_1) | instskip(NEXT) | instid1(SALU_CYCLE_1)
	s_add_nc_u64 s[20:21], s[0:1], s[20:21]
	s_cmp_eq_u64 s[20:21], 0
	s_cselect_b32 s1, s1, s21
	s_cselect_b32 s0, s0, s20
	s_delay_alu instid0(SALU_CYCLE_1) | instskip(SKIP_1) | instid1(SALU_CYCLE_1)
	v_dual_mov_b32 v21, s1 :: v_dual_mov_b32 v20, s0
	s_and_b64 s[20:21], s[0:1], s[30:31]
	s_mul_u64 s[20:21], s[20:21], 24
	s_wait_loadcnt 0x0
	v_add_nc_u64_e32 v[14:15], s[20:21], v[18:19]
	global_store_b64 v[14:15], v[22:23], off
	global_wb scope:SCOPE_SYS
	s_wait_storecnt 0x0
	s_wait_xcnt 0x0
	global_atomic_cmpswap_b64 v[20:21], v1, v[20:23], s[10:11] offset:24 th:TH_ATOMIC_RETURN scope:SCOPE_SYS
	s_wait_loadcnt 0x0
	v_cmp_ne_u64_e32 vcc_lo, v[20:21], v[22:23]
	s_and_b32 exec_lo, exec_lo, vcc_lo
	s_cbranch_execz .LBB1_33
; %bb.107:                              ;   in Loop: Header=BB1_34 Depth=2
	s_mov_b32 s20, 0
.LBB1_108:                              ;   Parent Loop BB1_5 Depth=1
                                        ;     Parent Loop BB1_34 Depth=2
                                        ; =>    This Inner Loop Header: Depth=3
	v_dual_mov_b32 v18, s0 :: v_dual_mov_b32 v19, s1
	s_sleep 1
	global_store_b64 v[14:15], v[20:21], off
	global_wb scope:SCOPE_SYS
	s_wait_storecnt 0x0
	s_wait_xcnt 0x0
	global_atomic_cmpswap_b64 v[18:19], v1, v[18:21], s[10:11] offset:24 th:TH_ATOMIC_RETURN scope:SCOPE_SYS
	s_wait_loadcnt 0x0
	v_cmp_eq_u64_e32 vcc_lo, v[18:19], v[20:21]
	v_mov_b64_e32 v[20:21], v[18:19]
	s_or_b32 s20, vcc_lo, s20
	s_delay_alu instid0(SALU_CYCLE_1)
	s_and_not1_b32 exec_lo, exec_lo, s20
	s_cbranch_execnz .LBB1_108
	s_branch .LBB1_33
.LBB1_109:                              ;   in Loop: Header=BB1_5 Depth=1
.LBB1_110:                              ;   in Loop: Header=BB1_5 Depth=1
	s_and_b32 vcc_lo, exec_lo, s27
	s_cbranch_vccz .LBB1_217
.LBB1_111:                              ;   in Loop: Header=BB1_5 Depth=1
	s_wait_loadcnt 0x0
	v_dual_mov_b32 v15, v13 :: v_dual_bitop2_b32 v14, -3, v12 bitop3:0x40
	s_mov_b64 s[14:15], 45
	s_mov_b64 s[16:17], s[12:13]
	s_branch .LBB1_113
.LBB1_112:                              ;   in Loop: Header=BB1_113 Depth=2
	s_or_b32 exec_lo, exec_lo, s22
	s_sub_nc_u64 s[14:15], s[14:15], s[18:19]
	s_add_nc_u64 s[16:17], s[16:17], s[18:19]
	s_cmp_lg_u64 s[14:15], 0
	s_cbranch_scc0 .LBB1_188
.LBB1_113:                              ;   Parent Loop BB1_5 Depth=1
                                        ; =>  This Loop Header: Depth=2
                                        ;       Child Loop BB1_116 Depth 3
                                        ;       Child Loop BB1_123 Depth 3
	;; [unrolled: 1-line block ×11, first 2 shown]
	s_wait_loadcnt 0x0
	v_min_u64 v[16:17], s[14:15], 56
	v_cmp_gt_u64_e64 s0, s[14:15], 7
	s_and_b32 vcc_lo, exec_lo, s0
	v_readfirstlane_b32 s18, v16
	v_readfirstlane_b32 s19, v17
	s_cbranch_vccnz .LBB1_118
; %bb.114:                              ;   in Loop: Header=BB1_113 Depth=2
	v_mov_b64_e32 v[16:17], 0
	s_cmp_eq_u64 s[14:15], 0
	s_cbranch_scc1 .LBB1_117
; %bb.115:                              ;   in Loop: Header=BB1_113 Depth=2
	s_mov_b64 s[0:1], 0
	s_mov_b64 s[20:21], 0
.LBB1_116:                              ;   Parent Loop BB1_5 Depth=1
                                        ;     Parent Loop BB1_113 Depth=2
                                        ; =>    This Inner Loop Header: Depth=3
	s_wait_xcnt 0x0
	s_add_nc_u64 s[22:23], s[16:17], s[20:21]
	s_add_nc_u64 s[20:21], s[20:21], 1
	global_load_u8 v0, v1, s[22:23]
	s_cmp_lg_u32 s18, s20
	s_wait_loadcnt 0x0
	v_and_b32_e32 v0, 0xffff, v0
	s_delay_alu instid0(VALU_DEP_1) | instskip(SKIP_1) | instid1(VALU_DEP_1)
	v_lshlrev_b64_e32 v[18:19], s0, v[0:1]
	s_add_nc_u64 s[0:1], s[0:1], 8
	v_or_b32_e32 v16, v18, v16
	s_delay_alu instid0(VALU_DEP_2)
	v_or_b32_e32 v17, v19, v17
	s_cbranch_scc1 .LBB1_116
.LBB1_117:                              ;   in Loop: Header=BB1_113 Depth=2
	s_mov_b64 s[0:1], s[16:17]
	s_mov_b32 s29, 0
	s_cbranch_execz .LBB1_119
	s_branch .LBB1_120
.LBB1_118:                              ;   in Loop: Header=BB1_113 Depth=2
	s_add_nc_u64 s[0:1], s[16:17], 8
	s_mov_b32 s29, 0
.LBB1_119:                              ;   in Loop: Header=BB1_113 Depth=2
	global_load_b64 v[16:17], v1, s[16:17]
	s_add_co_i32 s29, s18, -8
.LBB1_120:                              ;   in Loop: Header=BB1_113 Depth=2
	s_delay_alu instid0(SALU_CYCLE_1)
	s_cmp_gt_u32 s29, 7
	s_cbranch_scc1 .LBB1_125
; %bb.121:                              ;   in Loop: Header=BB1_113 Depth=2
	v_mov_b64_e32 v[18:19], 0
	s_cmp_eq_u32 s29, 0
	s_cbranch_scc1 .LBB1_124
; %bb.122:                              ;   in Loop: Header=BB1_113 Depth=2
	s_mov_b64 s[20:21], 0
	s_wait_xcnt 0x0
	s_mov_b64 s[22:23], 0
.LBB1_123:                              ;   Parent Loop BB1_5 Depth=1
                                        ;     Parent Loop BB1_113 Depth=2
                                        ; =>    This Inner Loop Header: Depth=3
	s_wait_xcnt 0x0
	s_add_nc_u64 s[30:31], s[0:1], s[22:23]
	s_add_nc_u64 s[22:23], s[22:23], 1
	global_load_u8 v0, v1, s[30:31]
	s_cmp_lg_u32 s29, s22
	s_wait_loadcnt 0x0
	v_and_b32_e32 v0, 0xffff, v0
	s_delay_alu instid0(VALU_DEP_1) | instskip(SKIP_1) | instid1(VALU_DEP_1)
	v_lshlrev_b64_e32 v[20:21], s20, v[0:1]
	s_add_nc_u64 s[20:21], s[20:21], 8
	v_or_b32_e32 v18, v20, v18
	s_delay_alu instid0(VALU_DEP_2)
	v_or_b32_e32 v19, v21, v19
	s_cbranch_scc1 .LBB1_123
.LBB1_124:                              ;   in Loop: Header=BB1_113 Depth=2
	s_wait_xcnt 0x0
	s_mov_b64 s[20:21], s[0:1]
	s_mov_b32 s30, 0
	s_cbranch_execz .LBB1_126
	s_branch .LBB1_127
.LBB1_125:                              ;   in Loop: Header=BB1_113 Depth=2
	s_add_nc_u64 s[20:21], s[0:1], 8
	s_wait_xcnt 0x0
                                        ; implicit-def: $vgpr18_vgpr19
	s_mov_b32 s30, 0
.LBB1_126:                              ;   in Loop: Header=BB1_113 Depth=2
	global_load_b64 v[18:19], v1, s[0:1]
	s_add_co_i32 s30, s29, -8
.LBB1_127:                              ;   in Loop: Header=BB1_113 Depth=2
	s_delay_alu instid0(SALU_CYCLE_1)
	s_cmp_gt_u32 s30, 7
	s_cbranch_scc1 .LBB1_132
; %bb.128:                              ;   in Loop: Header=BB1_113 Depth=2
	v_mov_b64_e32 v[20:21], 0
	s_cmp_eq_u32 s30, 0
	s_cbranch_scc1 .LBB1_131
; %bb.129:                              ;   in Loop: Header=BB1_113 Depth=2
	s_wait_xcnt 0x0
	s_mov_b64 s[0:1], 0
	s_mov_b64 s[22:23], 0
.LBB1_130:                              ;   Parent Loop BB1_5 Depth=1
                                        ;     Parent Loop BB1_113 Depth=2
                                        ; =>    This Inner Loop Header: Depth=3
	s_wait_xcnt 0x0
	s_add_nc_u64 s[34:35], s[20:21], s[22:23]
	s_add_nc_u64 s[22:23], s[22:23], 1
	global_load_u8 v0, v1, s[34:35]
	s_cmp_lg_u32 s30, s22
	s_wait_loadcnt 0x0
	v_and_b32_e32 v0, 0xffff, v0
	s_delay_alu instid0(VALU_DEP_1) | instskip(SKIP_1) | instid1(VALU_DEP_1)
	v_lshlrev_b64_e32 v[22:23], s0, v[0:1]
	s_add_nc_u64 s[0:1], s[0:1], 8
	v_or_b32_e32 v20, v22, v20
	s_delay_alu instid0(VALU_DEP_2)
	v_or_b32_e32 v21, v23, v21
	s_cbranch_scc1 .LBB1_130
.LBB1_131:                              ;   in Loop: Header=BB1_113 Depth=2
	s_wait_xcnt 0x0
	s_mov_b64 s[0:1], s[20:21]
	s_mov_b32 s29, 0
	s_cbranch_execz .LBB1_133
	s_branch .LBB1_134
.LBB1_132:                              ;   in Loop: Header=BB1_113 Depth=2
	s_wait_xcnt 0x0
	s_add_nc_u64 s[0:1], s[20:21], 8
	s_mov_b32 s29, 0
.LBB1_133:                              ;   in Loop: Header=BB1_113 Depth=2
	global_load_b64 v[20:21], v1, s[20:21]
	s_add_co_i32 s29, s30, -8
.LBB1_134:                              ;   in Loop: Header=BB1_113 Depth=2
	s_delay_alu instid0(SALU_CYCLE_1)
	s_cmp_gt_u32 s29, 7
	s_cbranch_scc1 .LBB1_139
; %bb.135:                              ;   in Loop: Header=BB1_113 Depth=2
	v_mov_b64_e32 v[22:23], 0
	s_cmp_eq_u32 s29, 0
	s_cbranch_scc1 .LBB1_138
; %bb.136:                              ;   in Loop: Header=BB1_113 Depth=2
	s_wait_xcnt 0x0
	s_mov_b64 s[20:21], 0
	s_mov_b64 s[22:23], 0
.LBB1_137:                              ;   Parent Loop BB1_5 Depth=1
                                        ;     Parent Loop BB1_113 Depth=2
                                        ; =>    This Inner Loop Header: Depth=3
	s_wait_xcnt 0x0
	s_add_nc_u64 s[30:31], s[0:1], s[22:23]
	s_add_nc_u64 s[22:23], s[22:23], 1
	global_load_u8 v0, v1, s[30:31]
	s_cmp_lg_u32 s29, s22
	s_wait_loadcnt 0x0
	v_and_b32_e32 v0, 0xffff, v0
	s_delay_alu instid0(VALU_DEP_1) | instskip(SKIP_1) | instid1(VALU_DEP_1)
	v_lshlrev_b64_e32 v[24:25], s20, v[0:1]
	s_add_nc_u64 s[20:21], s[20:21], 8
	v_or_b32_e32 v22, v24, v22
	s_delay_alu instid0(VALU_DEP_2)
	v_or_b32_e32 v23, v25, v23
	s_cbranch_scc1 .LBB1_137
.LBB1_138:                              ;   in Loop: Header=BB1_113 Depth=2
	s_wait_xcnt 0x0
	s_mov_b64 s[20:21], s[0:1]
	s_mov_b32 s30, 0
	s_cbranch_execz .LBB1_140
	s_branch .LBB1_141
.LBB1_139:                              ;   in Loop: Header=BB1_113 Depth=2
	s_wait_xcnt 0x0
	s_add_nc_u64 s[20:21], s[0:1], 8
                                        ; implicit-def: $vgpr22_vgpr23
	s_mov_b32 s30, 0
.LBB1_140:                              ;   in Loop: Header=BB1_113 Depth=2
	global_load_b64 v[22:23], v1, s[0:1]
	s_add_co_i32 s30, s29, -8
.LBB1_141:                              ;   in Loop: Header=BB1_113 Depth=2
	s_delay_alu instid0(SALU_CYCLE_1)
	s_cmp_gt_u32 s30, 7
	s_cbranch_scc1 .LBB1_146
; %bb.142:                              ;   in Loop: Header=BB1_113 Depth=2
	v_mov_b64_e32 v[24:25], 0
	s_cmp_eq_u32 s30, 0
	s_cbranch_scc1 .LBB1_145
; %bb.143:                              ;   in Loop: Header=BB1_113 Depth=2
	s_wait_xcnt 0x0
	s_mov_b64 s[0:1], 0
	s_mov_b64 s[22:23], 0
.LBB1_144:                              ;   Parent Loop BB1_5 Depth=1
                                        ;     Parent Loop BB1_113 Depth=2
                                        ; =>    This Inner Loop Header: Depth=3
	s_wait_xcnt 0x0
	s_add_nc_u64 s[34:35], s[20:21], s[22:23]
	s_add_nc_u64 s[22:23], s[22:23], 1
	global_load_u8 v0, v1, s[34:35]
	s_cmp_lg_u32 s30, s22
	s_wait_loadcnt 0x0
	v_and_b32_e32 v0, 0xffff, v0
	s_delay_alu instid0(VALU_DEP_1) | instskip(SKIP_1) | instid1(VALU_DEP_1)
	v_lshlrev_b64_e32 v[26:27], s0, v[0:1]
	s_add_nc_u64 s[0:1], s[0:1], 8
	v_or_b32_e32 v24, v26, v24
	s_delay_alu instid0(VALU_DEP_2)
	v_or_b32_e32 v25, v27, v25
	s_cbranch_scc1 .LBB1_144
.LBB1_145:                              ;   in Loop: Header=BB1_113 Depth=2
	s_wait_xcnt 0x0
	s_mov_b64 s[0:1], s[20:21]
	s_mov_b32 s29, 0
	s_cbranch_execz .LBB1_147
	s_branch .LBB1_148
.LBB1_146:                              ;   in Loop: Header=BB1_113 Depth=2
	s_wait_xcnt 0x0
	s_add_nc_u64 s[0:1], s[20:21], 8
	s_mov_b32 s29, 0
.LBB1_147:                              ;   in Loop: Header=BB1_113 Depth=2
	global_load_b64 v[24:25], v1, s[20:21]
	s_add_co_i32 s29, s30, -8
.LBB1_148:                              ;   in Loop: Header=BB1_113 Depth=2
	s_delay_alu instid0(SALU_CYCLE_1)
	s_cmp_gt_u32 s29, 7
	s_cbranch_scc1 .LBB1_153
; %bb.149:                              ;   in Loop: Header=BB1_113 Depth=2
	v_mov_b64_e32 v[26:27], 0
	s_cmp_eq_u32 s29, 0
	s_cbranch_scc1 .LBB1_152
; %bb.150:                              ;   in Loop: Header=BB1_113 Depth=2
	s_wait_xcnt 0x0
	s_mov_b64 s[20:21], 0
	s_mov_b64 s[22:23], 0
.LBB1_151:                              ;   Parent Loop BB1_5 Depth=1
                                        ;     Parent Loop BB1_113 Depth=2
                                        ; =>    This Inner Loop Header: Depth=3
	s_wait_xcnt 0x0
	s_add_nc_u64 s[30:31], s[0:1], s[22:23]
	s_add_nc_u64 s[22:23], s[22:23], 1
	global_load_u8 v0, v1, s[30:31]
	s_cmp_lg_u32 s29, s22
	s_wait_loadcnt 0x0
	v_and_b32_e32 v0, 0xffff, v0
	s_delay_alu instid0(VALU_DEP_1) | instskip(SKIP_1) | instid1(VALU_DEP_1)
	v_lshlrev_b64_e32 v[28:29], s20, v[0:1]
	s_add_nc_u64 s[20:21], s[20:21], 8
	v_or_b32_e32 v26, v28, v26
	s_delay_alu instid0(VALU_DEP_2)
	v_or_b32_e32 v27, v29, v27
	s_cbranch_scc1 .LBB1_151
.LBB1_152:                              ;   in Loop: Header=BB1_113 Depth=2
	s_wait_xcnt 0x0
	s_mov_b64 s[20:21], s[0:1]
	s_mov_b32 s30, 0
	s_cbranch_execz .LBB1_154
	s_branch .LBB1_155
.LBB1_153:                              ;   in Loop: Header=BB1_113 Depth=2
	s_wait_xcnt 0x0
	s_add_nc_u64 s[20:21], s[0:1], 8
                                        ; implicit-def: $vgpr26_vgpr27
	s_mov_b32 s30, 0
.LBB1_154:                              ;   in Loop: Header=BB1_113 Depth=2
	global_load_b64 v[26:27], v1, s[0:1]
	s_add_co_i32 s30, s29, -8
.LBB1_155:                              ;   in Loop: Header=BB1_113 Depth=2
	s_delay_alu instid0(SALU_CYCLE_1)
	s_cmp_gt_u32 s30, 7
	s_cbranch_scc1 .LBB1_160
; %bb.156:                              ;   in Loop: Header=BB1_113 Depth=2
	v_mov_b64_e32 v[28:29], 0
	s_cmp_eq_u32 s30, 0
	s_cbranch_scc1 .LBB1_159
; %bb.157:                              ;   in Loop: Header=BB1_113 Depth=2
	s_wait_xcnt 0x0
	s_mov_b64 s[0:1], 0
	s_mov_b64 s[22:23], s[20:21]
.LBB1_158:                              ;   Parent Loop BB1_5 Depth=1
                                        ;     Parent Loop BB1_113 Depth=2
                                        ; =>    This Inner Loop Header: Depth=3
	global_load_u8 v0, v1, s[22:23]
	s_add_co_i32 s30, s30, -1
	s_wait_xcnt 0x0
	s_add_nc_u64 s[22:23], s[22:23], 1
	s_cmp_lg_u32 s30, 0
	s_wait_loadcnt 0x0
	v_and_b32_e32 v0, 0xffff, v0
	s_delay_alu instid0(VALU_DEP_1) | instskip(SKIP_1) | instid1(VALU_DEP_1)
	v_lshlrev_b64_e32 v[30:31], s0, v[0:1]
	s_add_nc_u64 s[0:1], s[0:1], 8
	v_or_b32_e32 v28, v30, v28
	s_delay_alu instid0(VALU_DEP_2)
	v_or_b32_e32 v29, v31, v29
	s_cbranch_scc1 .LBB1_158
.LBB1_159:                              ;   in Loop: Header=BB1_113 Depth=2
	s_wait_xcnt 0x0
	s_cbranch_execz .LBB1_161
	s_branch .LBB1_162
.LBB1_160:                              ;   in Loop: Header=BB1_113 Depth=2
	s_wait_xcnt 0x0
.LBB1_161:                              ;   in Loop: Header=BB1_113 Depth=2
	global_load_b64 v[28:29], v1, s[20:21]
.LBB1_162:                              ;   in Loop: Header=BB1_113 Depth=2
	v_readfirstlane_b32 s0, v34
	v_mov_b64_e32 v[40:41], 0
	s_delay_alu instid0(VALU_DEP_2)
	v_cmp_eq_u32_e64 s0, s0, v34
	s_wait_xcnt 0x0
	s_and_saveexec_b32 s1, s0
	s_cbranch_execz .LBB1_168
; %bb.163:                              ;   in Loop: Header=BB1_113 Depth=2
	global_load_b64 v[32:33], v1, s[10:11] offset:24 scope:SCOPE_SYS
	s_wait_loadcnt 0x0
	global_inv scope:SCOPE_SYS
	s_clause 0x1
	global_load_b64 v[30:31], v1, s[10:11] offset:40
	global_load_b64 v[40:41], v1, s[10:11]
	s_mov_b32 s20, exec_lo
	s_wait_loadcnt 0x1
	v_and_b32_e32 v30, v30, v32
	v_and_b32_e32 v31, v31, v33
	s_delay_alu instid0(VALU_DEP_1) | instskip(SKIP_1) | instid1(VALU_DEP_1)
	v_mul_u64_e32 v[30:31], 24, v[30:31]
	s_wait_loadcnt 0x0
	v_add_nc_u64_e32 v[30:31], v[40:41], v[30:31]
	global_load_b64 v[30:31], v[30:31], off scope:SCOPE_SYS
	s_wait_xcnt 0x0
	s_wait_loadcnt 0x0
	global_atomic_cmpswap_b64 v[40:41], v1, v[30:33], s[10:11] offset:24 th:TH_ATOMIC_RETURN scope:SCOPE_SYS
	s_wait_loadcnt 0x0
	global_inv scope:SCOPE_SYS
	s_wait_xcnt 0x0
	v_cmpx_ne_u64_e64 v[40:41], v[32:33]
	s_cbranch_execz .LBB1_167
; %bb.164:                              ;   in Loop: Header=BB1_113 Depth=2
	s_mov_b32 s21, 0
.LBB1_165:                              ;   Parent Loop BB1_5 Depth=1
                                        ;     Parent Loop BB1_113 Depth=2
                                        ; =>    This Inner Loop Header: Depth=3
	s_sleep 1
	s_clause 0x1
	global_load_b64 v[30:31], v1, s[10:11] offset:40
	global_load_b64 v[42:43], v1, s[10:11]
	v_mov_b64_e32 v[32:33], v[40:41]
	s_wait_loadcnt 0x1
	s_delay_alu instid0(VALU_DEP_1) | instskip(SKIP_1) | instid1(VALU_DEP_1)
	v_and_b32_e32 v0, v30, v32
	s_wait_loadcnt 0x0
	v_mad_nc_u64_u32 v[40:41], v0, 24, v[42:43]
	s_delay_alu instid0(VALU_DEP_3) | instskip(NEXT) | instid1(VALU_DEP_1)
	v_and_b32_e32 v0, v31, v33
	v_mad_u32 v41, v0, 24, v41
	global_load_b64 v[30:31], v[40:41], off scope:SCOPE_SYS
	s_wait_xcnt 0x0
	s_wait_loadcnt 0x0
	global_atomic_cmpswap_b64 v[40:41], v1, v[30:33], s[10:11] offset:24 th:TH_ATOMIC_RETURN scope:SCOPE_SYS
	s_wait_loadcnt 0x0
	global_inv scope:SCOPE_SYS
	v_cmp_eq_u64_e32 vcc_lo, v[40:41], v[32:33]
	s_or_b32 s21, vcc_lo, s21
	s_wait_xcnt 0x0
	s_and_not1_b32 exec_lo, exec_lo, s21
	s_cbranch_execnz .LBB1_165
; %bb.166:                              ;   in Loop: Header=BB1_113 Depth=2
	s_or_b32 exec_lo, exec_lo, s21
.LBB1_167:                              ;   in Loop: Header=BB1_113 Depth=2
	s_delay_alu instid0(SALU_CYCLE_1)
	s_or_b32 exec_lo, exec_lo, s20
.LBB1_168:                              ;   in Loop: Header=BB1_113 Depth=2
	s_delay_alu instid0(SALU_CYCLE_1)
	s_or_b32 exec_lo, exec_lo, s1
	s_clause 0x1
	global_load_b64 v[42:43], v1, s[10:11] offset:40
	global_load_b128 v[30:33], v1, s[10:11]
	v_readfirstlane_b32 s20, v40
	v_readfirstlane_b32 s21, v41
	s_mov_b32 s1, exec_lo
	s_wait_loadcnt 0x1
	v_and_b32_e32 v42, s20, v42
	v_and_b32_e32 v43, s21, v43
	s_delay_alu instid0(VALU_DEP_1) | instskip(SKIP_1) | instid1(VALU_DEP_1)
	v_mul_u64_e32 v[40:41], 24, v[42:43]
	s_wait_loadcnt 0x0
	v_add_nc_u64_e32 v[40:41], v[30:31], v[40:41]
	s_wait_xcnt 0x0
	s_and_saveexec_b32 s22, s0
	s_cbranch_execz .LBB1_170
; %bb.169:                              ;   in Loop: Header=BB1_113 Depth=2
	v_mov_b32_e32 v0, s1
	global_store_b128 v[40:41], v[0:3], off offset:8
.LBB1_170:                              ;   in Loop: Header=BB1_113 Depth=2
	s_wait_xcnt 0x0
	s_or_b32 exec_lo, exec_lo, s22
	v_cmp_gt_u64_e64 s1, s[14:15], 56
	v_lshlrev_b64_e32 v[42:43], 12, v[42:43]
	v_and_b32_e32 v0, 0xffffff1f, v14
	s_and_b32 s1, s1, exec_lo
	s_delay_alu instid0(VALU_DEP_2) | instskip(SKIP_4) | instid1(VALU_DEP_2)
	v_add_nc_u64_e32 v[32:33], v[32:33], v[42:43]
	s_cselect_b32 s1, 0, 2
	s_lshl_b32 s22, s18, 2
	v_or_b32_e32 v0, s1, v0
	s_add_co_i32 s1, s22, 28
	v_readfirstlane_b32 s22, v32
	s_delay_alu instid0(VALU_DEP_3) | instskip(NEXT) | instid1(VALU_DEP_3)
	v_readfirstlane_b32 s23, v33
	v_and_or_b32 v14, 0x1e0, s1, v0
	s_clause 0x3
	global_store_b128 v36, v[14:17], s[22:23]
	global_store_b128 v36, v[18:21], s[22:23] offset:16
	global_store_b128 v36, v[22:25], s[22:23] offset:32
	;; [unrolled: 1-line block ×3, first 2 shown]
	s_wait_xcnt 0x0
	s_and_saveexec_b32 s1, s0
	s_cbranch_execz .LBB1_178
; %bb.171:                              ;   in Loop: Header=BB1_113 Depth=2
	s_clause 0x1
	global_load_b64 v[22:23], v1, s[10:11] offset:32 scope:SCOPE_SYS
	global_load_b64 v[14:15], v1, s[10:11] offset:40
	s_mov_b32 s22, exec_lo
	v_dual_mov_b32 v20, s20 :: v_dual_mov_b32 v21, s21
	s_wait_loadcnt 0x0
	v_and_b32_e32 v15, s21, v15
	v_and_b32_e32 v14, s20, v14
	s_delay_alu instid0(VALU_DEP_1) | instskip(NEXT) | instid1(VALU_DEP_1)
	v_mul_u64_e32 v[14:15], 24, v[14:15]
	v_add_nc_u64_e32 v[18:19], v[30:31], v[14:15]
	global_store_b64 v[18:19], v[22:23], off
	global_wb scope:SCOPE_SYS
	s_wait_storecnt 0x0
	s_wait_xcnt 0x0
	global_atomic_cmpswap_b64 v[16:17], v1, v[20:23], s[10:11] offset:32 th:TH_ATOMIC_RETURN scope:SCOPE_SYS
	s_wait_loadcnt 0x0
	v_cmpx_ne_u64_e64 v[16:17], v[22:23]
	s_cbranch_execz .LBB1_174
; %bb.172:                              ;   in Loop: Header=BB1_113 Depth=2
	s_mov_b32 s23, 0
.LBB1_173:                              ;   Parent Loop BB1_5 Depth=1
                                        ;     Parent Loop BB1_113 Depth=2
                                        ; =>    This Inner Loop Header: Depth=3
	v_dual_mov_b32 v14, s20 :: v_dual_mov_b32 v15, s21
	s_sleep 1
	global_store_b64 v[18:19], v[16:17], off
	global_wb scope:SCOPE_SYS
	s_wait_storecnt 0x0
	s_wait_xcnt 0x0
	global_atomic_cmpswap_b64 v[14:15], v1, v[14:17], s[10:11] offset:32 th:TH_ATOMIC_RETURN scope:SCOPE_SYS
	s_wait_loadcnt 0x0
	v_cmp_eq_u64_e32 vcc_lo, v[14:15], v[16:17]
	v_mov_b64_e32 v[16:17], v[14:15]
	s_or_b32 s23, vcc_lo, s23
	s_delay_alu instid0(SALU_CYCLE_1)
	s_and_not1_b32 exec_lo, exec_lo, s23
	s_cbranch_execnz .LBB1_173
.LBB1_174:                              ;   in Loop: Header=BB1_113 Depth=2
	s_or_b32 exec_lo, exec_lo, s22
	global_load_b64 v[14:15], v1, s[10:11] offset:16
	s_mov_b32 s23, exec_lo
	s_mov_b32 s22, exec_lo
	v_mbcnt_lo_u32_b32 v0, s23, 0
	s_wait_xcnt 0x0
	s_delay_alu instid0(VALU_DEP_1)
	v_cmpx_eq_u32_e32 0, v0
	s_cbranch_execz .LBB1_176
; %bb.175:                              ;   in Loop: Header=BB1_113 Depth=2
	s_bcnt1_i32_b32 s23, s23
	s_delay_alu instid0(SALU_CYCLE_1)
	v_mov_b32_e32 v0, s23
	global_wb scope:SCOPE_SYS
	s_wait_loadcnt 0x0
	s_wait_storecnt 0x0
	global_atomic_add_u64 v[14:15], v[0:1], off offset:8 scope:SCOPE_SYS
.LBB1_176:                              ;   in Loop: Header=BB1_113 Depth=2
	s_wait_xcnt 0x0
	s_or_b32 exec_lo, exec_lo, s22
	s_wait_loadcnt 0x0
	global_load_b64 v[16:17], v[14:15], off offset:16
	s_wait_loadcnt 0x0
	v_cmp_eq_u64_e32 vcc_lo, 0, v[16:17]
	s_cbranch_vccnz .LBB1_178
; %bb.177:                              ;   in Loop: Header=BB1_113 Depth=2
	global_load_b32 v0, v[14:15], off offset:24
	s_wait_loadcnt 0x0
	v_readfirstlane_b32 s22, v0
	global_wb scope:SCOPE_SYS
	s_wait_storecnt 0x0
	s_wait_xcnt 0x0
	global_store_b64 v[16:17], v[0:1], off scope:SCOPE_SYS
	s_and_b32 m0, s22, 0xffffff
	s_sendmsg sendmsg(MSG_INTERRUPT)
.LBB1_178:                              ;   in Loop: Header=BB1_113 Depth=2
	s_wait_xcnt 0x0
	s_or_b32 exec_lo, exec_lo, s1
	v_mov_b32_e32 v37, v1
	s_delay_alu instid0(VALU_DEP_1)
	v_add_nc_u64_e32 v[14:15], v[32:33], v[36:37]
	s_branch .LBB1_182
.LBB1_179:                              ;   in Loop: Header=BB1_182 Depth=3
	s_wait_xcnt 0x0
	s_or_b32 exec_lo, exec_lo, s1
	s_delay_alu instid0(VALU_DEP_1)
	v_readfirstlane_b32 s1, v0
	s_cmp_eq_u32 s1, 0
	s_cbranch_scc1 .LBB1_181
; %bb.180:                              ;   in Loop: Header=BB1_182 Depth=3
	s_sleep 1
	s_cbranch_execnz .LBB1_182
	s_branch .LBB1_184
.LBB1_181:                              ;   in Loop: Header=BB1_113 Depth=2
	s_branch .LBB1_184
.LBB1_182:                              ;   Parent Loop BB1_5 Depth=1
                                        ;     Parent Loop BB1_113 Depth=2
                                        ; =>    This Inner Loop Header: Depth=3
	v_mov_b32_e32 v0, 1
	s_and_saveexec_b32 s1, s0
	s_cbranch_execz .LBB1_179
; %bb.183:                              ;   in Loop: Header=BB1_182 Depth=3
	global_load_b32 v0, v[40:41], off offset:20 scope:SCOPE_SYS
	s_wait_loadcnt 0x0
	global_inv scope:SCOPE_SYS
	v_and_b32_e32 v0, 1, v0
	s_branch .LBB1_179
.LBB1_184:                              ;   in Loop: Header=BB1_113 Depth=2
	global_load_b128 v[14:17], v[14:15], off
	s_wait_xcnt 0x0
	s_and_saveexec_b32 s22, s0
	s_cbranch_execz .LBB1_112
; %bb.185:                              ;   in Loop: Header=BB1_113 Depth=2
	s_wait_loadcnt 0x0
	s_clause 0x2
	global_load_b64 v[16:17], v1, s[10:11] offset:40
	global_load_b64 v[24:25], v1, s[10:11] offset:24 scope:SCOPE_SYS
	global_load_b64 v[18:19], v1, s[10:11]
	s_wait_loadcnt 0x2
	v_readfirstlane_b32 s30, v16
	v_readfirstlane_b32 s31, v17
	s_add_nc_u64 s[0:1], s[30:31], 1
	s_delay_alu instid0(SALU_CYCLE_1) | instskip(NEXT) | instid1(SALU_CYCLE_1)
	s_add_nc_u64 s[20:21], s[0:1], s[20:21]
	s_cmp_eq_u64 s[20:21], 0
	s_cselect_b32 s1, s1, s21
	s_cselect_b32 s0, s0, s20
	s_delay_alu instid0(SALU_CYCLE_1) | instskip(SKIP_1) | instid1(SALU_CYCLE_1)
	v_dual_mov_b32 v23, s1 :: v_dual_mov_b32 v22, s0
	s_and_b64 s[20:21], s[0:1], s[30:31]
	s_mul_u64 s[20:21], s[20:21], 24
	s_wait_loadcnt 0x0
	v_add_nc_u64_e32 v[20:21], s[20:21], v[18:19]
	global_store_b64 v[20:21], v[24:25], off
	global_wb scope:SCOPE_SYS
	s_wait_storecnt 0x0
	s_wait_xcnt 0x0
	global_atomic_cmpswap_b64 v[18:19], v1, v[22:25], s[10:11] offset:24 th:TH_ATOMIC_RETURN scope:SCOPE_SYS
	s_wait_loadcnt 0x0
	v_cmp_ne_u64_e32 vcc_lo, v[18:19], v[24:25]
	s_and_b32 exec_lo, exec_lo, vcc_lo
	s_cbranch_execz .LBB1_112
; %bb.186:                              ;   in Loop: Header=BB1_113 Depth=2
	s_mov_b32 s20, 0
.LBB1_187:                              ;   Parent Loop BB1_5 Depth=1
                                        ;     Parent Loop BB1_113 Depth=2
                                        ; =>    This Inner Loop Header: Depth=3
	v_dual_mov_b32 v16, s0 :: v_dual_mov_b32 v17, s1
	s_sleep 1
	global_store_b64 v[20:21], v[18:19], off
	global_wb scope:SCOPE_SYS
	s_wait_storecnt 0x0
	s_wait_xcnt 0x0
	global_atomic_cmpswap_b64 v[16:17], v1, v[16:19], s[10:11] offset:24 th:TH_ATOMIC_RETURN scope:SCOPE_SYS
	s_wait_loadcnt 0x0
	v_cmp_eq_u64_e32 vcc_lo, v[16:17], v[18:19]
	v_mov_b64_e32 v[18:19], v[16:17]
	s_or_b32 s20, vcc_lo, s20
	s_delay_alu instid0(SALU_CYCLE_1)
	s_and_not1_b32 exec_lo, exec_lo, s20
	s_cbranch_execnz .LBB1_187
	s_branch .LBB1_112
.LBB1_188:                              ;   in Loop: Header=BB1_5 Depth=1
	s_branch .LBB1_4
.LBB1_189:                              ;   in Loop: Header=BB1_5 Depth=1
                                        ; implicit-def: $vgpr12_vgpr13
	s_cbranch_execz .LBB1_110
; %bb.190:                              ;   in Loop: Header=BB1_5 Depth=1
	v_readfirstlane_b32 s0, v34
	v_mov_b64_e32 v[18:19], 0
	s_delay_alu instid0(VALU_DEP_2)
	v_cmp_eq_u32_e64 s0, s0, v34
	s_and_saveexec_b32 s1, s0
	s_cbranch_execz .LBB1_196
; %bb.191:                              ;   in Loop: Header=BB1_5 Depth=1
	global_load_b64 v[14:15], v1, s[10:11] offset:24 scope:SCOPE_SYS
	s_wait_loadcnt 0x0
	global_inv scope:SCOPE_SYS
	s_clause 0x1
	global_load_b64 v[12:13], v1, s[10:11] offset:40
	global_load_b64 v[18:19], v1, s[10:11]
	s_mov_b32 s14, exec_lo
	s_wait_loadcnt 0x1
	v_and_b32_e32 v12, v12, v14
	v_and_b32_e32 v13, v13, v15
	s_delay_alu instid0(VALU_DEP_1) | instskip(SKIP_1) | instid1(VALU_DEP_1)
	v_mul_u64_e32 v[12:13], 24, v[12:13]
	s_wait_loadcnt 0x0
	v_add_nc_u64_e32 v[12:13], v[18:19], v[12:13]
	global_load_b64 v[12:13], v[12:13], off scope:SCOPE_SYS
	s_wait_xcnt 0x0
	s_wait_loadcnt 0x0
	global_atomic_cmpswap_b64 v[18:19], v1, v[12:15], s[10:11] offset:24 th:TH_ATOMIC_RETURN scope:SCOPE_SYS
	s_wait_loadcnt 0x0
	global_inv scope:SCOPE_SYS
	s_wait_xcnt 0x0
	v_cmpx_ne_u64_e64 v[18:19], v[14:15]
	s_cbranch_execz .LBB1_195
; %bb.192:                              ;   in Loop: Header=BB1_5 Depth=1
	s_mov_b32 s15, 0
.LBB1_193:                              ;   Parent Loop BB1_5 Depth=1
                                        ; =>  This Inner Loop Header: Depth=2
	s_sleep 1
	s_clause 0x1
	global_load_b64 v[12:13], v1, s[10:11] offset:40
	global_load_b64 v[20:21], v1, s[10:11]
	v_mov_b64_e32 v[14:15], v[18:19]
	s_wait_loadcnt 0x1
	s_delay_alu instid0(VALU_DEP_1) | instskip(SKIP_1) | instid1(VALU_DEP_1)
	v_and_b32_e32 v0, v12, v14
	s_wait_loadcnt 0x0
	v_mad_nc_u64_u32 v[18:19], v0, 24, v[20:21]
	s_delay_alu instid0(VALU_DEP_3) | instskip(NEXT) | instid1(VALU_DEP_1)
	v_and_b32_e32 v0, v13, v15
	v_mad_u32 v19, v0, 24, v19
	global_load_b64 v[12:13], v[18:19], off scope:SCOPE_SYS
	s_wait_xcnt 0x0
	s_wait_loadcnt 0x0
	global_atomic_cmpswap_b64 v[18:19], v1, v[12:15], s[10:11] offset:24 th:TH_ATOMIC_RETURN scope:SCOPE_SYS
	s_wait_loadcnt 0x0
	global_inv scope:SCOPE_SYS
	v_cmp_eq_u64_e32 vcc_lo, v[18:19], v[14:15]
	s_or_b32 s15, vcc_lo, s15
	s_wait_xcnt 0x0
	s_and_not1_b32 exec_lo, exec_lo, s15
	s_cbranch_execnz .LBB1_193
; %bb.194:                              ;   in Loop: Header=BB1_5 Depth=1
	s_or_b32 exec_lo, exec_lo, s15
.LBB1_195:                              ;   in Loop: Header=BB1_5 Depth=1
	s_delay_alu instid0(SALU_CYCLE_1)
	s_or_b32 exec_lo, exec_lo, s14
.LBB1_196:                              ;   in Loop: Header=BB1_5 Depth=1
	s_delay_alu instid0(SALU_CYCLE_1)
	s_or_b32 exec_lo, exec_lo, s1
	global_load_b64 v[20:21], v1, s[10:11] offset:40
	s_wait_loadcnt 0x1
	global_load_b128 v[12:15], v1, s[10:11]
	v_readfirstlane_b32 s14, v18
	v_readfirstlane_b32 s15, v19
	s_mov_b32 s1, exec_lo
	s_wait_loadcnt 0x1
	v_and_b32_e32 v18, s14, v20
	v_and_b32_e32 v19, s15, v21
	s_delay_alu instid0(VALU_DEP_1) | instskip(SKIP_1) | instid1(VALU_DEP_1)
	v_mul_u64_e32 v[20:21], 24, v[18:19]
	s_wait_loadcnt 0x0
	v_add_nc_u64_e32 v[20:21], v[12:13], v[20:21]
	s_wait_xcnt 0x0
	s_and_saveexec_b32 s16, s0
	s_cbranch_execz .LBB1_198
; %bb.197:                              ;   in Loop: Header=BB1_5 Depth=1
	v_mov_b32_e32 v0, s1
	global_store_b128 v[20:21], v[0:3], off offset:8
.LBB1_198:                              ;   in Loop: Header=BB1_5 Depth=1
	s_wait_xcnt 0x0
	s_or_b32 exec_lo, exec_lo, s16
	v_lshlrev_b64_e32 v[18:19], 12, v[18:19]
	v_mov_b64_e32 v[26:27], s[6:7]
	v_mov_b64_e32 v[24:25], s[4:5]
	v_and_or_b32 v16, 0xffffff1f, v16, 32
	s_delay_alu instid0(VALU_DEP_4) | instskip(SKIP_1) | instid1(VALU_DEP_2)
	v_add_nc_u64_e32 v[22:23], v[14:15], v[18:19]
	v_dual_mov_b32 v18, v1 :: v_dual_mov_b32 v19, v1
	v_readfirstlane_b32 s16, v22
	s_delay_alu instid0(VALU_DEP_3)
	v_readfirstlane_b32 s17, v23
	s_clause 0x3
	global_store_b128 v36, v[16:19], s[16:17]
	global_store_b128 v36, v[24:27], s[16:17] offset:16
	global_store_b128 v36, v[24:27], s[16:17] offset:32
	;; [unrolled: 1-line block ×3, first 2 shown]
	s_wait_xcnt 0x0
	s_and_saveexec_b32 s1, s0
	s_cbranch_execz .LBB1_206
; %bb.199:                              ;   in Loop: Header=BB1_5 Depth=1
	s_clause 0x1
	global_load_b64 v[26:27], v1, s[10:11] offset:32 scope:SCOPE_SYS
	global_load_b64 v[14:15], v1, s[10:11] offset:40
	s_mov_b32 s16, exec_lo
	v_dual_mov_b32 v24, s14 :: v_dual_mov_b32 v25, s15
	s_wait_loadcnt 0x0
	v_and_b32_e32 v15, s15, v15
	v_and_b32_e32 v14, s14, v14
	s_delay_alu instid0(VALU_DEP_1) | instskip(NEXT) | instid1(VALU_DEP_1)
	v_mul_u64_e32 v[14:15], 24, v[14:15]
	v_add_nc_u64_e32 v[16:17], v[12:13], v[14:15]
	global_store_b64 v[16:17], v[26:27], off
	global_wb scope:SCOPE_SYS
	s_wait_storecnt 0x0
	s_wait_xcnt 0x0
	global_atomic_cmpswap_b64 v[14:15], v1, v[24:27], s[10:11] offset:32 th:TH_ATOMIC_RETURN scope:SCOPE_SYS
	s_wait_loadcnt 0x0
	v_cmpx_ne_u64_e64 v[14:15], v[26:27]
	s_cbranch_execz .LBB1_202
; %bb.200:                              ;   in Loop: Header=BB1_5 Depth=1
	s_mov_b32 s17, 0
.LBB1_201:                              ;   Parent Loop BB1_5 Depth=1
                                        ; =>  This Inner Loop Header: Depth=2
	v_dual_mov_b32 v12, s14 :: v_dual_mov_b32 v13, s15
	s_sleep 1
	global_store_b64 v[16:17], v[14:15], off
	global_wb scope:SCOPE_SYS
	s_wait_storecnt 0x0
	s_wait_xcnt 0x0
	global_atomic_cmpswap_b64 v[12:13], v1, v[12:15], s[10:11] offset:32 th:TH_ATOMIC_RETURN scope:SCOPE_SYS
	s_wait_loadcnt 0x0
	v_cmp_eq_u64_e32 vcc_lo, v[12:13], v[14:15]
	v_mov_b64_e32 v[14:15], v[12:13]
	s_or_b32 s17, vcc_lo, s17
	s_delay_alu instid0(SALU_CYCLE_1)
	s_and_not1_b32 exec_lo, exec_lo, s17
	s_cbranch_execnz .LBB1_201
.LBB1_202:                              ;   in Loop: Header=BB1_5 Depth=1
	s_or_b32 exec_lo, exec_lo, s16
	global_load_b64 v[12:13], v1, s[10:11] offset:16
	s_mov_b32 s17, exec_lo
	s_mov_b32 s16, exec_lo
	v_mbcnt_lo_u32_b32 v0, s17, 0
	s_wait_xcnt 0x0
	s_delay_alu instid0(VALU_DEP_1)
	v_cmpx_eq_u32_e32 0, v0
	s_cbranch_execz .LBB1_204
; %bb.203:                              ;   in Loop: Header=BB1_5 Depth=1
	s_bcnt1_i32_b32 s17, s17
	s_delay_alu instid0(SALU_CYCLE_1)
	v_mov_b32_e32 v0, s17
	global_wb scope:SCOPE_SYS
	s_wait_loadcnt 0x0
	s_wait_storecnt 0x0
	global_atomic_add_u64 v[12:13], v[0:1], off offset:8 scope:SCOPE_SYS
.LBB1_204:                              ;   in Loop: Header=BB1_5 Depth=1
	s_wait_xcnt 0x0
	s_or_b32 exec_lo, exec_lo, s16
	s_wait_loadcnt 0x0
	global_load_b64 v[14:15], v[12:13], off offset:16
	s_wait_loadcnt 0x0
	v_cmp_eq_u64_e32 vcc_lo, 0, v[14:15]
	s_cbranch_vccnz .LBB1_206
; %bb.205:                              ;   in Loop: Header=BB1_5 Depth=1
	global_load_b32 v0, v[12:13], off offset:24
	s_wait_loadcnt 0x0
	v_readfirstlane_b32 s16, v0
	global_wb scope:SCOPE_SYS
	s_wait_storecnt 0x0
	s_wait_xcnt 0x0
	global_store_b64 v[14:15], v[0:1], off scope:SCOPE_SYS
	s_and_b32 m0, s16, 0xffffff
	s_sendmsg sendmsg(MSG_INTERRUPT)
.LBB1_206:                              ;   in Loop: Header=BB1_5 Depth=1
	s_wait_xcnt 0x0
	s_or_b32 exec_lo, exec_lo, s1
	v_mov_b32_e32 v37, v1
	s_delay_alu instid0(VALU_DEP_1)
	v_add_nc_u64_e32 v[12:13], v[22:23], v[36:37]
	s_branch .LBB1_210
.LBB1_207:                              ;   in Loop: Header=BB1_210 Depth=2
	s_wait_xcnt 0x0
	s_or_b32 exec_lo, exec_lo, s1
	s_delay_alu instid0(VALU_DEP_1)
	v_readfirstlane_b32 s1, v0
	s_cmp_eq_u32 s1, 0
	s_cbranch_scc1 .LBB1_209
; %bb.208:                              ;   in Loop: Header=BB1_210 Depth=2
	s_sleep 1
	s_cbranch_execnz .LBB1_210
	s_branch .LBB1_212
.LBB1_209:                              ;   in Loop: Header=BB1_5 Depth=1
	s_branch .LBB1_212
.LBB1_210:                              ;   Parent Loop BB1_5 Depth=1
                                        ; =>  This Inner Loop Header: Depth=2
	v_mov_b32_e32 v0, 1
	s_and_saveexec_b32 s1, s0
	s_cbranch_execz .LBB1_207
; %bb.211:                              ;   in Loop: Header=BB1_210 Depth=2
	global_load_b32 v0, v[20:21], off offset:20 scope:SCOPE_SYS
	s_wait_loadcnt 0x0
	global_inv scope:SCOPE_SYS
	v_and_b32_e32 v0, 1, v0
	s_branch .LBB1_207
.LBB1_212:                              ;   in Loop: Header=BB1_5 Depth=1
	global_load_b64 v[12:13], v[12:13], off
	s_wait_xcnt 0x0
	s_and_saveexec_b32 s16, s0
	s_cbranch_execz .LBB1_216
; %bb.213:                              ;   in Loop: Header=BB1_5 Depth=1
	s_clause 0x2
	global_load_b64 v[14:15], v1, s[10:11] offset:40
	global_load_b64 v[22:23], v1, s[10:11] offset:24 scope:SCOPE_SYS
	global_load_b64 v[16:17], v1, s[10:11]
	s_wait_loadcnt 0x2
	v_readfirstlane_b32 s18, v14
	v_readfirstlane_b32 s19, v15
	s_add_nc_u64 s[0:1], s[18:19], 1
	s_delay_alu instid0(SALU_CYCLE_1) | instskip(NEXT) | instid1(SALU_CYCLE_1)
	s_add_nc_u64 s[14:15], s[0:1], s[14:15]
	s_cmp_eq_u64 s[14:15], 0
	s_cselect_b32 s1, s1, s15
	s_cselect_b32 s0, s0, s14
	s_delay_alu instid0(SALU_CYCLE_1) | instskip(SKIP_1) | instid1(SALU_CYCLE_1)
	v_dual_mov_b32 v21, s1 :: v_dual_mov_b32 v20, s0
	s_and_b64 s[14:15], s[0:1], s[18:19]
	s_mul_u64 s[14:15], s[14:15], 24
	s_wait_loadcnt 0x0
	v_add_nc_u64_e32 v[18:19], s[14:15], v[16:17]
	global_store_b64 v[18:19], v[22:23], off
	global_wb scope:SCOPE_SYS
	s_wait_storecnt 0x0
	s_wait_xcnt 0x0
	global_atomic_cmpswap_b64 v[16:17], v1, v[20:23], s[10:11] offset:24 th:TH_ATOMIC_RETURN scope:SCOPE_SYS
	s_wait_loadcnt 0x0
	v_cmp_ne_u64_e32 vcc_lo, v[16:17], v[22:23]
	s_and_b32 exec_lo, exec_lo, vcc_lo
	s_cbranch_execz .LBB1_216
; %bb.214:                              ;   in Loop: Header=BB1_5 Depth=1
	s_mov_b32 s14, 0
.LBB1_215:                              ;   Parent Loop BB1_5 Depth=1
                                        ; =>  This Inner Loop Header: Depth=2
	v_dual_mov_b32 v14, s0 :: v_dual_mov_b32 v15, s1
	s_sleep 1
	global_store_b64 v[18:19], v[16:17], off
	global_wb scope:SCOPE_SYS
	s_wait_storecnt 0x0
	s_wait_xcnt 0x0
	global_atomic_cmpswap_b64 v[14:15], v1, v[14:17], s[10:11] offset:24 th:TH_ATOMIC_RETURN scope:SCOPE_SYS
	s_wait_loadcnt 0x0
	v_cmp_eq_u64_e32 vcc_lo, v[14:15], v[16:17]
	v_mov_b64_e32 v[16:17], v[14:15]
	s_or_b32 s14, vcc_lo, s14
	s_delay_alu instid0(SALU_CYCLE_1)
	s_and_not1_b32 exec_lo, exec_lo, s14
	s_cbranch_execnz .LBB1_215
.LBB1_216:                              ;   in Loop: Header=BB1_5 Depth=1
	s_or_b32 exec_lo, exec_lo, s16
	s_delay_alu instid0(SALU_CYCLE_1)
	s_and_b32 vcc_lo, exec_lo, s27
	s_cbranch_vccnz .LBB1_111
.LBB1_217:                              ;   in Loop: Header=BB1_5 Depth=1
	s_cbranch_execz .LBB1_4
; %bb.218:                              ;   in Loop: Header=BB1_5 Depth=1
	v_readfirstlane_b32 s0, v34
	s_wait_loadcnt 0x0
	v_mov_b64_e32 v[14:15], 0
	s_delay_alu instid0(VALU_DEP_2)
	v_cmp_eq_u32_e64 s0, s0, v34
	s_and_saveexec_b32 s1, s0
	s_cbranch_execz .LBB1_224
; %bb.219:                              ;   in Loop: Header=BB1_5 Depth=1
	global_load_b64 v[16:17], v1, s[10:11] offset:24 scope:SCOPE_SYS
	s_wait_loadcnt 0x0
	global_inv scope:SCOPE_SYS
	s_clause 0x1
	global_load_b64 v[14:15], v1, s[10:11] offset:40
	global_load_b64 v[18:19], v1, s[10:11]
	s_mov_b32 s14, exec_lo
	s_wait_loadcnt 0x1
	v_and_b32_e32 v14, v14, v16
	v_and_b32_e32 v15, v15, v17
	s_delay_alu instid0(VALU_DEP_1) | instskip(SKIP_1) | instid1(VALU_DEP_1)
	v_mul_u64_e32 v[14:15], 24, v[14:15]
	s_wait_loadcnt 0x0
	v_add_nc_u64_e32 v[14:15], v[18:19], v[14:15]
	global_load_b64 v[14:15], v[14:15], off scope:SCOPE_SYS
	s_wait_xcnt 0x0
	s_wait_loadcnt 0x0
	global_atomic_cmpswap_b64 v[14:15], v1, v[14:17], s[10:11] offset:24 th:TH_ATOMIC_RETURN scope:SCOPE_SYS
	s_wait_loadcnt 0x0
	global_inv scope:SCOPE_SYS
	s_wait_xcnt 0x0
	v_cmpx_ne_u64_e64 v[14:15], v[16:17]
	s_cbranch_execz .LBB1_223
; %bb.220:                              ;   in Loop: Header=BB1_5 Depth=1
	s_mov_b32 s15, 0
.LBB1_221:                              ;   Parent Loop BB1_5 Depth=1
                                        ; =>  This Inner Loop Header: Depth=2
	s_sleep 1
	s_clause 0x1
	global_load_b64 v[18:19], v1, s[10:11] offset:40
	global_load_b64 v[20:21], v1, s[10:11]
	v_mov_b64_e32 v[16:17], v[14:15]
	s_wait_loadcnt 0x1
	s_delay_alu instid0(VALU_DEP_1) | instskip(SKIP_1) | instid1(VALU_DEP_1)
	v_and_b32_e32 v0, v18, v16
	s_wait_loadcnt 0x0
	v_mad_nc_u64_u32 v[14:15], v0, 24, v[20:21]
	s_delay_alu instid0(VALU_DEP_3) | instskip(NEXT) | instid1(VALU_DEP_1)
	v_and_b32_e32 v0, v19, v17
	v_mad_u32 v15, v0, 24, v15
	global_load_b64 v[14:15], v[14:15], off scope:SCOPE_SYS
	s_wait_xcnt 0x0
	s_wait_loadcnt 0x0
	global_atomic_cmpswap_b64 v[14:15], v1, v[14:17], s[10:11] offset:24 th:TH_ATOMIC_RETURN scope:SCOPE_SYS
	s_wait_loadcnt 0x0
	global_inv scope:SCOPE_SYS
	v_cmp_eq_u64_e32 vcc_lo, v[14:15], v[16:17]
	s_or_b32 s15, vcc_lo, s15
	s_wait_xcnt 0x0
	s_and_not1_b32 exec_lo, exec_lo, s15
	s_cbranch_execnz .LBB1_221
; %bb.222:                              ;   in Loop: Header=BB1_5 Depth=1
	s_or_b32 exec_lo, exec_lo, s15
.LBB1_223:                              ;   in Loop: Header=BB1_5 Depth=1
	s_delay_alu instid0(SALU_CYCLE_1)
	s_or_b32 exec_lo, exec_lo, s14
.LBB1_224:                              ;   in Loop: Header=BB1_5 Depth=1
	s_delay_alu instid0(SALU_CYCLE_1)
	s_or_b32 exec_lo, exec_lo, s1
	s_clause 0x1
	global_load_b64 v[20:21], v1, s[10:11] offset:40
	global_load_b128 v[16:19], v1, s[10:11]
	v_readfirstlane_b32 s14, v14
	v_readfirstlane_b32 s15, v15
	s_mov_b32 s1, exec_lo
	s_wait_loadcnt 0x1
	v_and_b32_e32 v14, s14, v20
	v_and_b32_e32 v15, s15, v21
	s_delay_alu instid0(VALU_DEP_1) | instskip(SKIP_1) | instid1(VALU_DEP_1)
	v_mul_u64_e32 v[20:21], 24, v[14:15]
	s_wait_loadcnt 0x0
	v_add_nc_u64_e32 v[20:21], v[16:17], v[20:21]
	s_wait_xcnt 0x0
	s_and_saveexec_b32 s16, s0
	s_cbranch_execz .LBB1_226
; %bb.225:                              ;   in Loop: Header=BB1_5 Depth=1
	v_mov_b32_e32 v0, s1
	global_store_b128 v[20:21], v[0:3], off offset:8
.LBB1_226:                              ;   in Loop: Header=BB1_5 Depth=1
	s_wait_xcnt 0x0
	s_or_b32 exec_lo, exec_lo, s16
	v_lshlrev_b64_e32 v[14:15], 12, v[14:15]
	v_mov_b64_e32 v[24:25], s[6:7]
	v_mov_b64_e32 v[22:23], s[4:5]
	v_and_or_b32 v12, 0xffffff1d, v12, 34
	s_delay_alu instid0(VALU_DEP_4) | instskip(SKIP_1) | instid1(VALU_DEP_2)
	v_add_nc_u64_e32 v[18:19], v[18:19], v[14:15]
	v_dual_mov_b32 v14, v1 :: v_dual_mov_b32 v15, v1
	v_readfirstlane_b32 s16, v18
	s_delay_alu instid0(VALU_DEP_3)
	v_readfirstlane_b32 s17, v19
	s_clause 0x3
	global_store_b128 v36, v[12:15], s[16:17]
	global_store_b128 v36, v[22:25], s[16:17] offset:16
	global_store_b128 v36, v[22:25], s[16:17] offset:32
	global_store_b128 v36, v[22:25], s[16:17] offset:48
	s_wait_xcnt 0x0
	s_and_saveexec_b32 s1, s0
	s_cbranch_execz .LBB1_234
; %bb.227:                              ;   in Loop: Header=BB1_5 Depth=1
	s_clause 0x1
	global_load_b64 v[24:25], v1, s[10:11] offset:32 scope:SCOPE_SYS
	global_load_b64 v[12:13], v1, s[10:11] offset:40
	s_mov_b32 s16, exec_lo
	v_dual_mov_b32 v22, s14 :: v_dual_mov_b32 v23, s15
	s_wait_loadcnt 0x0
	v_and_b32_e32 v13, s15, v13
	v_and_b32_e32 v12, s14, v12
	s_delay_alu instid0(VALU_DEP_1) | instskip(NEXT) | instid1(VALU_DEP_1)
	v_mul_u64_e32 v[12:13], 24, v[12:13]
	v_add_nc_u64_e32 v[16:17], v[16:17], v[12:13]
	global_store_b64 v[16:17], v[24:25], off
	global_wb scope:SCOPE_SYS
	s_wait_storecnt 0x0
	s_wait_xcnt 0x0
	global_atomic_cmpswap_b64 v[14:15], v1, v[22:25], s[10:11] offset:32 th:TH_ATOMIC_RETURN scope:SCOPE_SYS
	s_wait_loadcnt 0x0
	v_cmpx_ne_u64_e64 v[14:15], v[24:25]
	s_cbranch_execz .LBB1_230
; %bb.228:                              ;   in Loop: Header=BB1_5 Depth=1
	s_mov_b32 s17, 0
.LBB1_229:                              ;   Parent Loop BB1_5 Depth=1
                                        ; =>  This Inner Loop Header: Depth=2
	v_dual_mov_b32 v12, s14 :: v_dual_mov_b32 v13, s15
	s_sleep 1
	global_store_b64 v[16:17], v[14:15], off
	global_wb scope:SCOPE_SYS
	s_wait_storecnt 0x0
	s_wait_xcnt 0x0
	global_atomic_cmpswap_b64 v[12:13], v1, v[12:15], s[10:11] offset:32 th:TH_ATOMIC_RETURN scope:SCOPE_SYS
	s_wait_loadcnt 0x0
	v_cmp_eq_u64_e32 vcc_lo, v[12:13], v[14:15]
	v_mov_b64_e32 v[14:15], v[12:13]
	s_or_b32 s17, vcc_lo, s17
	s_delay_alu instid0(SALU_CYCLE_1)
	s_and_not1_b32 exec_lo, exec_lo, s17
	s_cbranch_execnz .LBB1_229
.LBB1_230:                              ;   in Loop: Header=BB1_5 Depth=1
	s_or_b32 exec_lo, exec_lo, s16
	global_load_b64 v[12:13], v1, s[10:11] offset:16
	s_mov_b32 s17, exec_lo
	s_mov_b32 s16, exec_lo
	v_mbcnt_lo_u32_b32 v0, s17, 0
	s_wait_xcnt 0x0
	s_delay_alu instid0(VALU_DEP_1)
	v_cmpx_eq_u32_e32 0, v0
	s_cbranch_execz .LBB1_232
; %bb.231:                              ;   in Loop: Header=BB1_5 Depth=1
	s_bcnt1_i32_b32 s17, s17
	s_delay_alu instid0(SALU_CYCLE_1)
	v_mov_b32_e32 v0, s17
	global_wb scope:SCOPE_SYS
	s_wait_loadcnt 0x0
	s_wait_storecnt 0x0
	global_atomic_add_u64 v[12:13], v[0:1], off offset:8 scope:SCOPE_SYS
.LBB1_232:                              ;   in Loop: Header=BB1_5 Depth=1
	s_wait_xcnt 0x0
	s_or_b32 exec_lo, exec_lo, s16
	s_wait_loadcnt 0x0
	global_load_b64 v[14:15], v[12:13], off offset:16
	s_wait_loadcnt 0x0
	v_cmp_eq_u64_e32 vcc_lo, 0, v[14:15]
	s_cbranch_vccnz .LBB1_234
; %bb.233:                              ;   in Loop: Header=BB1_5 Depth=1
	global_load_b32 v0, v[12:13], off offset:24
	s_wait_loadcnt 0x0
	v_readfirstlane_b32 s16, v0
	global_wb scope:SCOPE_SYS
	s_wait_storecnt 0x0
	s_wait_xcnt 0x0
	global_store_b64 v[14:15], v[0:1], off scope:SCOPE_SYS
	s_and_b32 m0, s16, 0xffffff
	s_sendmsg sendmsg(MSG_INTERRUPT)
.LBB1_234:                              ;   in Loop: Header=BB1_5 Depth=1
	s_wait_xcnt 0x0
	s_or_b32 exec_lo, exec_lo, s1
	s_branch .LBB1_238
.LBB1_235:                              ;   in Loop: Header=BB1_238 Depth=2
	s_wait_xcnt 0x0
	s_or_b32 exec_lo, exec_lo, s1
	s_delay_alu instid0(VALU_DEP_1)
	v_readfirstlane_b32 s1, v0
	s_cmp_eq_u32 s1, 0
	s_cbranch_scc1 .LBB1_237
; %bb.236:                              ;   in Loop: Header=BB1_238 Depth=2
	s_sleep 1
	s_cbranch_execnz .LBB1_238
	s_branch .LBB1_240
.LBB1_237:                              ;   in Loop: Header=BB1_5 Depth=1
	s_branch .LBB1_240
.LBB1_238:                              ;   Parent Loop BB1_5 Depth=1
                                        ; =>  This Inner Loop Header: Depth=2
	v_mov_b32_e32 v0, 1
	s_and_saveexec_b32 s1, s0
	s_cbranch_execz .LBB1_235
; %bb.239:                              ;   in Loop: Header=BB1_238 Depth=2
	global_load_b32 v0, v[20:21], off offset:20 scope:SCOPE_SYS
	s_wait_loadcnt 0x0
	global_inv scope:SCOPE_SYS
	v_and_b32_e32 v0, 1, v0
	s_branch .LBB1_235
.LBB1_240:                              ;   in Loop: Header=BB1_5 Depth=1
	s_and_saveexec_b32 s16, s0
	s_cbranch_execz .LBB1_3
; %bb.241:                              ;   in Loop: Header=BB1_5 Depth=1
	s_clause 0x2
	global_load_b64 v[12:13], v1, s[10:11] offset:40
	global_load_b64 v[20:21], v1, s[10:11] offset:24 scope:SCOPE_SYS
	global_load_b64 v[14:15], v1, s[10:11]
	s_wait_loadcnt 0x2
	v_readfirstlane_b32 s18, v12
	v_readfirstlane_b32 s19, v13
	s_add_nc_u64 s[0:1], s[18:19], 1
	s_delay_alu instid0(SALU_CYCLE_1) | instskip(NEXT) | instid1(SALU_CYCLE_1)
	s_add_nc_u64 s[14:15], s[0:1], s[14:15]
	s_cmp_eq_u64 s[14:15], 0
	s_cselect_b32 s1, s1, s15
	s_cselect_b32 s0, s0, s14
	s_delay_alu instid0(SALU_CYCLE_1) | instskip(SKIP_1) | instid1(SALU_CYCLE_1)
	v_dual_mov_b32 v19, s1 :: v_dual_mov_b32 v18, s0
	s_and_b64 s[14:15], s[0:1], s[18:19]
	s_mul_u64 s[14:15], s[14:15], 24
	s_wait_loadcnt 0x0
	v_add_nc_u64_e32 v[16:17], s[14:15], v[14:15]
	global_store_b64 v[16:17], v[20:21], off
	global_wb scope:SCOPE_SYS
	s_wait_storecnt 0x0
	s_wait_xcnt 0x0
	global_atomic_cmpswap_b64 v[14:15], v1, v[18:21], s[10:11] offset:24 th:TH_ATOMIC_RETURN scope:SCOPE_SYS
	s_wait_loadcnt 0x0
	v_cmp_ne_u64_e32 vcc_lo, v[14:15], v[20:21]
	s_and_b32 exec_lo, exec_lo, vcc_lo
	s_cbranch_execz .LBB1_3
; %bb.242:                              ;   in Loop: Header=BB1_5 Depth=1
	s_mov_b32 s14, 0
.LBB1_243:                              ;   Parent Loop BB1_5 Depth=1
                                        ; =>  This Inner Loop Header: Depth=2
	v_dual_mov_b32 v12, s0 :: v_dual_mov_b32 v13, s1
	s_sleep 1
	global_store_b64 v[16:17], v[14:15], off
	global_wb scope:SCOPE_SYS
	s_wait_storecnt 0x0
	s_wait_xcnt 0x0
	global_atomic_cmpswap_b64 v[12:13], v1, v[12:15], s[10:11] offset:24 th:TH_ATOMIC_RETURN scope:SCOPE_SYS
	s_wait_loadcnt 0x0
	v_cmp_eq_u64_e32 vcc_lo, v[12:13], v[14:15]
	v_mov_b64_e32 v[14:15], v[12:13]
	s_or_b32 s14, vcc_lo, s14
	s_delay_alu instid0(SALU_CYCLE_1)
	s_and_not1_b32 exec_lo, exec_lo, s14
	s_cbranch_execnz .LBB1_243
	s_branch .LBB1_3
.LBB1_244:
	s_and_not1_saveexec_b32 s0, s25
	s_cbranch_execz .LBB1_488
; %bb.245:
	v_cmp_ne_u32_e32 vcc_lo, 1, v0
	s_cbranch_vccnz .LBB1_488
; %bb.246:
	s_load_b64 s[2:3], s[2:3], 0x50
	v_mbcnt_lo_u32_b32 v34, -1, 0
	s_mov_b32 s4, 0
	v_mov_b32_e32 v1, 0
	s_mov_b32 s6, s4
	s_mov_b32 s7, s4
	v_lshlrev_b32_e32 v36, 6, v34
	s_mov_b32 s5, s4
	s_get_pc_i64 s[8:9]
	s_add_nc_u64 s[8:9], s[8:9], .str@rel64+4
	v_mov_b64_e32 v[10:11], s[6:7]
	v_mov_b64_e32 v[2:3], 0x100000002
	;; [unrolled: 1-line block ×3, first 2 shown]
	s_get_pc_i64 s[10:11]
	s_add_nc_u64 s[10:11], s[10:11], .str.2@rel64+4
	s_cmp_lg_u64 s[8:9], 0
	v_dual_mov_b32 v38, v36 :: v_dual_mov_b32 v39, v1
	v_dual_mov_b32 v4, 33 :: v_dual_mov_b32 v5, v1
	;; [unrolled: 1-line block ×3, first 2 shown]
	s_cselect_b32 s22, -1, 0
	s_cmp_lg_u64 s[10:11], 0
	s_mov_b32 s25, s4
	s_cselect_b32 s23, -1, 0
	s_branch .LBB1_249
.LBB1_247:                              ;   in Loop: Header=BB1_249 Depth=1
	s_or_b32 exec_lo, exec_lo, s14
.LBB1_248:                              ;   in Loop: Header=BB1_249 Depth=1
	s_add_co_i32 s25, s25, 1
	s_delay_alu instid0(SALU_CYCLE_1)
	s_cmp_eq_u32 s25, s24
	s_cbranch_scc1 .LBB1_488
.LBB1_249:                              ; =>This Loop Header: Depth=1
                                        ;     Child Loop BB1_252 Depth 2
                                        ;     Child Loop BB1_260 Depth 2
                                        ;     Child Loop BB1_269 Depth 2
                                        ;     Child Loop BB1_274 Depth 2
                                        ;     Child Loop BB1_437 Depth 2
                                        ;     Child Loop BB1_445 Depth 2
                                        ;     Child Loop BB1_454 Depth 2
                                        ;     Child Loop BB1_459 Depth 2
                                        ;     Child Loop BB1_278 Depth 2
                                        ;       Child Loop BB1_281 Depth 3
                                        ;       Child Loop BB1_288 Depth 3
	;; [unrolled: 1-line block ×11, first 2 shown]
                                        ;     Child Loop BB1_465 Depth 2
                                        ;     Child Loop BB1_473 Depth 2
	;; [unrolled: 1-line block ×5, first 2 shown]
                                        ;       Child Loop BB1_360 Depth 3
                                        ;       Child Loop BB1_367 Depth 3
	;; [unrolled: 1-line block ×11, first 2 shown]
	v_readfirstlane_b32 s0, v34
	s_wait_loadcnt 0x0
	v_mov_b64_e32 v[16:17], 0
	s_delay_alu instid0(VALU_DEP_2)
	v_cmp_eq_u32_e64 s0, s0, v34
	s_and_saveexec_b32 s1, s0
	s_cbranch_execz .LBB1_255
; %bb.250:                              ;   in Loop: Header=BB1_249 Depth=1
	s_wait_kmcnt 0x0
	global_load_b64 v[14:15], v1, s[2:3] offset:24 scope:SCOPE_SYS
	s_wait_loadcnt 0x0
	global_inv scope:SCOPE_SYS
	s_clause 0x1
	global_load_b64 v[12:13], v1, s[2:3] offset:40
	global_load_b64 v[16:17], v1, s[2:3]
	s_mov_b32 s12, exec_lo
	s_wait_loadcnt 0x1
	v_and_b32_e32 v12, v12, v14
	v_and_b32_e32 v13, v13, v15
	s_delay_alu instid0(VALU_DEP_1) | instskip(SKIP_1) | instid1(VALU_DEP_1)
	v_mul_u64_e32 v[12:13], 24, v[12:13]
	s_wait_loadcnt 0x0
	v_add_nc_u64_e32 v[12:13], v[16:17], v[12:13]
	global_load_b64 v[12:13], v[12:13], off scope:SCOPE_SYS
	s_wait_xcnt 0x0
	s_wait_loadcnt 0x0
	global_atomic_cmpswap_b64 v[16:17], v1, v[12:15], s[2:3] offset:24 th:TH_ATOMIC_RETURN scope:SCOPE_SYS
	s_wait_loadcnt 0x0
	global_inv scope:SCOPE_SYS
	s_wait_xcnt 0x0
	v_cmpx_ne_u64_e64 v[16:17], v[14:15]
	s_cbranch_execz .LBB1_254
; %bb.251:                              ;   in Loop: Header=BB1_249 Depth=1
	s_mov_b32 s13, 0
.LBB1_252:                              ;   Parent Loop BB1_249 Depth=1
                                        ; =>  This Inner Loop Header: Depth=2
	s_sleep 1
	s_clause 0x1
	global_load_b64 v[12:13], v1, s[2:3] offset:40
	global_load_b64 v[18:19], v1, s[2:3]
	v_mov_b64_e32 v[14:15], v[16:17]
	s_wait_loadcnt 0x1
	s_delay_alu instid0(VALU_DEP_1) | instskip(SKIP_1) | instid1(VALU_DEP_1)
	v_and_b32_e32 v0, v12, v14
	s_wait_loadcnt 0x0
	v_mad_nc_u64_u32 v[16:17], v0, 24, v[18:19]
	s_delay_alu instid0(VALU_DEP_3) | instskip(NEXT) | instid1(VALU_DEP_1)
	v_and_b32_e32 v0, v13, v15
	v_mad_u32 v17, v0, 24, v17
	global_load_b64 v[12:13], v[16:17], off scope:SCOPE_SYS
	s_wait_xcnt 0x0
	s_wait_loadcnt 0x0
	global_atomic_cmpswap_b64 v[16:17], v1, v[12:15], s[2:3] offset:24 th:TH_ATOMIC_RETURN scope:SCOPE_SYS
	s_wait_loadcnt 0x0
	global_inv scope:SCOPE_SYS
	v_cmp_eq_u64_e32 vcc_lo, v[16:17], v[14:15]
	s_or_b32 s13, vcc_lo, s13
	s_wait_xcnt 0x0
	s_and_not1_b32 exec_lo, exec_lo, s13
	s_cbranch_execnz .LBB1_252
; %bb.253:                              ;   in Loop: Header=BB1_249 Depth=1
	s_or_b32 exec_lo, exec_lo, s13
.LBB1_254:                              ;   in Loop: Header=BB1_249 Depth=1
	s_delay_alu instid0(SALU_CYCLE_1)
	s_or_b32 exec_lo, exec_lo, s12
.LBB1_255:                              ;   in Loop: Header=BB1_249 Depth=1
	s_delay_alu instid0(SALU_CYCLE_1)
	s_or_b32 exec_lo, exec_lo, s1
	s_wait_kmcnt 0x0
	s_clause 0x1
	global_load_b64 v[18:19], v1, s[2:3] offset:40
	global_load_b128 v[12:15], v1, s[2:3]
	v_readfirstlane_b32 s12, v16
	v_readfirstlane_b32 s13, v17
	s_mov_b32 s1, exec_lo
	s_wait_loadcnt 0x1
	v_and_b32_e32 v18, s12, v18
	v_and_b32_e32 v19, s13, v19
	s_delay_alu instid0(VALU_DEP_1) | instskip(SKIP_1) | instid1(VALU_DEP_1)
	v_mul_u64_e32 v[16:17], 24, v[18:19]
	s_wait_loadcnt 0x0
	v_add_nc_u64_e32 v[16:17], v[12:13], v[16:17]
	s_wait_xcnt 0x0
	s_and_saveexec_b32 s14, s0
	s_cbranch_execz .LBB1_257
; %bb.256:                              ;   in Loop: Header=BB1_249 Depth=1
	v_mov_b32_e32 v0, s1
	global_store_b128 v[16:17], v[0:3], off offset:8
.LBB1_257:                              ;   in Loop: Header=BB1_249 Depth=1
	s_wait_xcnt 0x0
	s_or_b32 exec_lo, exec_lo, s14
	v_lshlrev_b64_e32 v[18:19], 12, v[18:19]
	s_delay_alu instid0(VALU_DEP_1) | instskip(NEXT) | instid1(VALU_DEP_1)
	v_add_nc_u64_e32 v[18:19], v[14:15], v[18:19]
	v_readfirstlane_b32 s14, v18
	s_delay_alu instid0(VALU_DEP_2)
	v_readfirstlane_b32 s15, v19
	s_clause 0x3
	global_store_b128 v36, v[4:7], s[14:15]
	global_store_b128 v36, v[8:11], s[14:15] offset:16
	global_store_b128 v36, v[8:11], s[14:15] offset:32
	;; [unrolled: 1-line block ×3, first 2 shown]
	s_wait_xcnt 0x0
	s_and_saveexec_b32 s1, s0
	s_cbranch_execz .LBB1_265
; %bb.258:                              ;   in Loop: Header=BB1_249 Depth=1
	s_clause 0x1
	global_load_b64 v[24:25], v1, s[2:3] offset:32 scope:SCOPE_SYS
	global_load_b64 v[14:15], v1, s[2:3] offset:40
	s_mov_b32 s14, exec_lo
	v_dual_mov_b32 v22, s12 :: v_dual_mov_b32 v23, s13
	s_wait_loadcnt 0x0
	v_and_b32_e32 v15, s13, v15
	v_and_b32_e32 v14, s12, v14
	s_delay_alu instid0(VALU_DEP_1) | instskip(NEXT) | instid1(VALU_DEP_1)
	v_mul_u64_e32 v[14:15], 24, v[14:15]
	v_add_nc_u64_e32 v[20:21], v[12:13], v[14:15]
	global_store_b64 v[20:21], v[24:25], off
	global_wb scope:SCOPE_SYS
	s_wait_storecnt 0x0
	s_wait_xcnt 0x0
	global_atomic_cmpswap_b64 v[14:15], v1, v[22:25], s[2:3] offset:32 th:TH_ATOMIC_RETURN scope:SCOPE_SYS
	s_wait_loadcnt 0x0
	v_cmpx_ne_u64_e64 v[14:15], v[24:25]
	s_cbranch_execz .LBB1_261
; %bb.259:                              ;   in Loop: Header=BB1_249 Depth=1
	s_mov_b32 s15, 0
.LBB1_260:                              ;   Parent Loop BB1_249 Depth=1
                                        ; =>  This Inner Loop Header: Depth=2
	v_dual_mov_b32 v12, s12 :: v_dual_mov_b32 v13, s13
	s_sleep 1
	global_store_b64 v[20:21], v[14:15], off
	global_wb scope:SCOPE_SYS
	s_wait_storecnt 0x0
	s_wait_xcnt 0x0
	global_atomic_cmpswap_b64 v[12:13], v1, v[12:15], s[2:3] offset:32 th:TH_ATOMIC_RETURN scope:SCOPE_SYS
	s_wait_loadcnt 0x0
	v_cmp_eq_u64_e32 vcc_lo, v[12:13], v[14:15]
	v_mov_b64_e32 v[14:15], v[12:13]
	s_or_b32 s15, vcc_lo, s15
	s_delay_alu instid0(SALU_CYCLE_1)
	s_and_not1_b32 exec_lo, exec_lo, s15
	s_cbranch_execnz .LBB1_260
.LBB1_261:                              ;   in Loop: Header=BB1_249 Depth=1
	s_or_b32 exec_lo, exec_lo, s14
	global_load_b64 v[12:13], v1, s[2:3] offset:16
	s_mov_b32 s15, exec_lo
	s_mov_b32 s14, exec_lo
	v_mbcnt_lo_u32_b32 v0, s15, 0
	s_wait_xcnt 0x0
	s_delay_alu instid0(VALU_DEP_1)
	v_cmpx_eq_u32_e32 0, v0
	s_cbranch_execz .LBB1_263
; %bb.262:                              ;   in Loop: Header=BB1_249 Depth=1
	s_bcnt1_i32_b32 s15, s15
	s_delay_alu instid0(SALU_CYCLE_1)
	v_mov_b32_e32 v0, s15
	global_wb scope:SCOPE_SYS
	s_wait_loadcnt 0x0
	s_wait_storecnt 0x0
	global_atomic_add_u64 v[12:13], v[0:1], off offset:8 scope:SCOPE_SYS
.LBB1_263:                              ;   in Loop: Header=BB1_249 Depth=1
	s_wait_xcnt 0x0
	s_or_b32 exec_lo, exec_lo, s14
	s_wait_loadcnt 0x0
	global_load_b64 v[14:15], v[12:13], off offset:16
	s_wait_loadcnt 0x0
	v_cmp_eq_u64_e32 vcc_lo, 0, v[14:15]
	s_cbranch_vccnz .LBB1_265
; %bb.264:                              ;   in Loop: Header=BB1_249 Depth=1
	global_load_b32 v0, v[12:13], off offset:24
	s_wait_loadcnt 0x0
	v_readfirstlane_b32 s14, v0
	global_wb scope:SCOPE_SYS
	s_wait_storecnt 0x0
	s_wait_xcnt 0x0
	global_store_b64 v[14:15], v[0:1], off scope:SCOPE_SYS
	s_and_b32 m0, s14, 0xffffff
	s_sendmsg sendmsg(MSG_INTERRUPT)
.LBB1_265:                              ;   in Loop: Header=BB1_249 Depth=1
	s_wait_xcnt 0x0
	s_or_b32 exec_lo, exec_lo, s1
	v_add_nc_u64_e32 v[12:13], v[18:19], v[38:39]
	s_branch .LBB1_269
.LBB1_266:                              ;   in Loop: Header=BB1_269 Depth=2
	s_wait_xcnt 0x0
	s_or_b32 exec_lo, exec_lo, s1
	s_delay_alu instid0(VALU_DEP_1)
	v_readfirstlane_b32 s1, v0
	s_cmp_eq_u32 s1, 0
	s_cbranch_scc1 .LBB1_268
; %bb.267:                              ;   in Loop: Header=BB1_269 Depth=2
	s_sleep 1
	s_cbranch_execnz .LBB1_269
	s_branch .LBB1_271
.LBB1_268:                              ;   in Loop: Header=BB1_249 Depth=1
	s_branch .LBB1_271
.LBB1_269:                              ;   Parent Loop BB1_249 Depth=1
                                        ; =>  This Inner Loop Header: Depth=2
	v_mov_b32_e32 v0, 1
	s_and_saveexec_b32 s1, s0
	s_cbranch_execz .LBB1_266
; %bb.270:                              ;   in Loop: Header=BB1_269 Depth=2
	global_load_b32 v0, v[16:17], off offset:20 scope:SCOPE_SYS
	s_wait_loadcnt 0x0
	global_inv scope:SCOPE_SYS
	v_and_b32_e32 v0, 1, v0
	s_branch .LBB1_266
.LBB1_271:                              ;   in Loop: Header=BB1_249 Depth=1
	global_load_b64 v[16:17], v[12:13], off
	s_wait_xcnt 0x0
	s_and_saveexec_b32 s14, s0
	s_cbranch_execz .LBB1_275
; %bb.272:                              ;   in Loop: Header=BB1_249 Depth=1
	s_clause 0x2
	global_load_b64 v[12:13], v1, s[2:3] offset:40
	global_load_b64 v[22:23], v1, s[2:3] offset:24 scope:SCOPE_SYS
	global_load_b64 v[14:15], v1, s[2:3]
	s_wait_loadcnt 0x2
	v_readfirstlane_b32 s16, v12
	v_readfirstlane_b32 s17, v13
	s_add_nc_u64 s[0:1], s[16:17], 1
	s_delay_alu instid0(SALU_CYCLE_1) | instskip(NEXT) | instid1(SALU_CYCLE_1)
	s_add_nc_u64 s[12:13], s[0:1], s[12:13]
	s_cmp_eq_u64 s[12:13], 0
	s_cselect_b32 s1, s1, s13
	s_cselect_b32 s0, s0, s12
	s_delay_alu instid0(SALU_CYCLE_1) | instskip(SKIP_1) | instid1(SALU_CYCLE_1)
	v_dual_mov_b32 v21, s1 :: v_dual_mov_b32 v20, s0
	s_and_b64 s[12:13], s[0:1], s[16:17]
	s_mul_u64 s[12:13], s[12:13], 24
	s_wait_loadcnt 0x0
	v_add_nc_u64_e32 v[18:19], s[12:13], v[14:15]
	global_store_b64 v[18:19], v[22:23], off
	global_wb scope:SCOPE_SYS
	s_wait_storecnt 0x0
	s_wait_xcnt 0x0
	global_atomic_cmpswap_b64 v[14:15], v1, v[20:23], s[2:3] offset:24 th:TH_ATOMIC_RETURN scope:SCOPE_SYS
	s_wait_loadcnt 0x0
	v_cmp_ne_u64_e32 vcc_lo, v[14:15], v[22:23]
	s_and_b32 exec_lo, exec_lo, vcc_lo
	s_cbranch_execz .LBB1_275
; %bb.273:                              ;   in Loop: Header=BB1_249 Depth=1
	s_mov_b32 s12, 0
.LBB1_274:                              ;   Parent Loop BB1_249 Depth=1
                                        ; =>  This Inner Loop Header: Depth=2
	v_dual_mov_b32 v12, s0 :: v_dual_mov_b32 v13, s1
	s_sleep 1
	global_store_b64 v[18:19], v[14:15], off
	global_wb scope:SCOPE_SYS
	s_wait_storecnt 0x0
	s_wait_xcnt 0x0
	global_atomic_cmpswap_b64 v[12:13], v1, v[12:15], s[2:3] offset:24 th:TH_ATOMIC_RETURN scope:SCOPE_SYS
	s_wait_loadcnt 0x0
	v_cmp_eq_u64_e32 vcc_lo, v[12:13], v[14:15]
	v_mov_b64_e32 v[14:15], v[12:13]
	s_or_b32 s12, vcc_lo, s12
	s_delay_alu instid0(SALU_CYCLE_1)
	s_and_not1_b32 exec_lo, exec_lo, s12
	s_cbranch_execnz .LBB1_274
.LBB1_275:                              ;   in Loop: Header=BB1_249 Depth=1
	s_or_b32 exec_lo, exec_lo, s14
	s_delay_alu instid0(SALU_CYCLE_1)
	s_and_b32 vcc_lo, exec_lo, s22
	s_cbranch_vccz .LBB1_433
; %bb.276:                              ;   in Loop: Header=BB1_249 Depth=1
	s_wait_loadcnt 0x0
	v_dual_mov_b32 v13, v17 :: v_dual_bitop2_b32 v40, 2, v16 bitop3:0x40
	v_and_b32_e32 v12, -3, v16
	s_mov_b64 s[12:13], 3
	s_mov_b64 s[14:15], s[8:9]
	s_branch .LBB1_278
.LBB1_277:                              ;   in Loop: Header=BB1_278 Depth=2
	s_or_b32 exec_lo, exec_lo, s20
	s_sub_nc_u64 s[12:13], s[12:13], s[16:17]
	s_add_nc_u64 s[14:15], s[14:15], s[16:17]
	s_cmp_lg_u64 s[12:13], 0
	s_cbranch_scc0 .LBB1_353
.LBB1_278:                              ;   Parent Loop BB1_249 Depth=1
                                        ; =>  This Loop Header: Depth=2
                                        ;       Child Loop BB1_281 Depth 3
                                        ;       Child Loop BB1_288 Depth 3
	;; [unrolled: 1-line block ×11, first 2 shown]
	v_min_u64 v[14:15], s[12:13], 56
	v_cmp_gt_u64_e64 s0, s[12:13], 7
	s_and_b32 vcc_lo, exec_lo, s0
	v_readfirstlane_b32 s16, v14
	v_readfirstlane_b32 s17, v15
	s_cbranch_vccnz .LBB1_283
; %bb.279:                              ;   in Loop: Header=BB1_278 Depth=2
	v_mov_b64_e32 v[14:15], 0
	s_cmp_eq_u64 s[12:13], 0
	s_cbranch_scc1 .LBB1_282
; %bb.280:                              ;   in Loop: Header=BB1_278 Depth=2
	s_mov_b64 s[0:1], 0
	s_mov_b64 s[18:19], 0
.LBB1_281:                              ;   Parent Loop BB1_249 Depth=1
                                        ;     Parent Loop BB1_278 Depth=2
                                        ; =>    This Inner Loop Header: Depth=3
	s_wait_xcnt 0x0
	s_add_nc_u64 s[20:21], s[14:15], s[18:19]
	s_add_nc_u64 s[18:19], s[18:19], 1
	global_load_u8 v0, v1, s[20:21]
	s_cmp_lg_u32 s16, s18
	s_wait_loadcnt 0x0
	v_and_b32_e32 v0, 0xffff, v0
	s_delay_alu instid0(VALU_DEP_1) | instskip(SKIP_1) | instid1(VALU_DEP_1)
	v_lshlrev_b64_e32 v[18:19], s0, v[0:1]
	s_add_nc_u64 s[0:1], s[0:1], 8
	v_or_b32_e32 v14, v18, v14
	s_delay_alu instid0(VALU_DEP_2)
	v_or_b32_e32 v15, v19, v15
	s_cbranch_scc1 .LBB1_281
.LBB1_282:                              ;   in Loop: Header=BB1_278 Depth=2
	s_mov_b64 s[0:1], s[14:15]
	s_mov_b32 s26, 0
	s_cbranch_execz .LBB1_284
	s_branch .LBB1_285
.LBB1_283:                              ;   in Loop: Header=BB1_278 Depth=2
	s_add_nc_u64 s[0:1], s[14:15], 8
	s_mov_b32 s26, 0
.LBB1_284:                              ;   in Loop: Header=BB1_278 Depth=2
	global_load_b64 v[14:15], v1, s[14:15]
	s_add_co_i32 s26, s16, -8
.LBB1_285:                              ;   in Loop: Header=BB1_278 Depth=2
	s_delay_alu instid0(SALU_CYCLE_1)
	s_cmp_gt_u32 s26, 7
	s_cbranch_scc1 .LBB1_290
; %bb.286:                              ;   in Loop: Header=BB1_278 Depth=2
	v_mov_b64_e32 v[18:19], 0
	s_cmp_eq_u32 s26, 0
	s_cbranch_scc1 .LBB1_289
; %bb.287:                              ;   in Loop: Header=BB1_278 Depth=2
	s_mov_b64 s[18:19], 0
	s_wait_xcnt 0x0
	s_mov_b64 s[20:21], 0
.LBB1_288:                              ;   Parent Loop BB1_249 Depth=1
                                        ;     Parent Loop BB1_278 Depth=2
                                        ; =>    This Inner Loop Header: Depth=3
	s_wait_xcnt 0x0
	s_add_nc_u64 s[28:29], s[0:1], s[20:21]
	s_add_nc_u64 s[20:21], s[20:21], 1
	global_load_u8 v0, v1, s[28:29]
	s_cmp_lg_u32 s26, s20
	s_wait_loadcnt 0x0
	v_and_b32_e32 v0, 0xffff, v0
	s_delay_alu instid0(VALU_DEP_1) | instskip(SKIP_1) | instid1(VALU_DEP_1)
	v_lshlrev_b64_e32 v[20:21], s18, v[0:1]
	s_add_nc_u64 s[18:19], s[18:19], 8
	v_or_b32_e32 v18, v20, v18
	s_delay_alu instid0(VALU_DEP_2)
	v_or_b32_e32 v19, v21, v19
	s_cbranch_scc1 .LBB1_288
.LBB1_289:                              ;   in Loop: Header=BB1_278 Depth=2
	s_wait_xcnt 0x0
	s_mov_b64 s[18:19], s[0:1]
	s_mov_b32 s27, 0
	s_cbranch_execz .LBB1_291
	s_branch .LBB1_292
.LBB1_290:                              ;   in Loop: Header=BB1_278 Depth=2
	s_add_nc_u64 s[18:19], s[0:1], 8
	s_wait_xcnt 0x0
                                        ; implicit-def: $vgpr18_vgpr19
	s_mov_b32 s27, 0
.LBB1_291:                              ;   in Loop: Header=BB1_278 Depth=2
	global_load_b64 v[18:19], v1, s[0:1]
	s_add_co_i32 s27, s26, -8
.LBB1_292:                              ;   in Loop: Header=BB1_278 Depth=2
	s_delay_alu instid0(SALU_CYCLE_1)
	s_cmp_gt_u32 s27, 7
	s_cbranch_scc1 .LBB1_297
; %bb.293:                              ;   in Loop: Header=BB1_278 Depth=2
	v_mov_b64_e32 v[20:21], 0
	s_cmp_eq_u32 s27, 0
	s_cbranch_scc1 .LBB1_296
; %bb.294:                              ;   in Loop: Header=BB1_278 Depth=2
	s_wait_xcnt 0x0
	s_mov_b64 s[0:1], 0
	s_mov_b64 s[20:21], 0
.LBB1_295:                              ;   Parent Loop BB1_249 Depth=1
                                        ;     Parent Loop BB1_278 Depth=2
                                        ; =>    This Inner Loop Header: Depth=3
	s_wait_xcnt 0x0
	s_add_nc_u64 s[28:29], s[18:19], s[20:21]
	s_add_nc_u64 s[20:21], s[20:21], 1
	global_load_u8 v0, v1, s[28:29]
	s_cmp_lg_u32 s27, s20
	s_wait_loadcnt 0x0
	v_and_b32_e32 v0, 0xffff, v0
	s_delay_alu instid0(VALU_DEP_1) | instskip(SKIP_1) | instid1(VALU_DEP_1)
	v_lshlrev_b64_e32 v[22:23], s0, v[0:1]
	s_add_nc_u64 s[0:1], s[0:1], 8
	v_or_b32_e32 v20, v22, v20
	s_delay_alu instid0(VALU_DEP_2)
	v_or_b32_e32 v21, v23, v21
	s_cbranch_scc1 .LBB1_295
.LBB1_296:                              ;   in Loop: Header=BB1_278 Depth=2
	s_wait_xcnt 0x0
	s_mov_b64 s[0:1], s[18:19]
	s_mov_b32 s26, 0
	s_cbranch_execz .LBB1_298
	s_branch .LBB1_299
.LBB1_297:                              ;   in Loop: Header=BB1_278 Depth=2
	s_wait_xcnt 0x0
	s_add_nc_u64 s[0:1], s[18:19], 8
	s_mov_b32 s26, 0
.LBB1_298:                              ;   in Loop: Header=BB1_278 Depth=2
	global_load_b64 v[20:21], v1, s[18:19]
	s_add_co_i32 s26, s27, -8
.LBB1_299:                              ;   in Loop: Header=BB1_278 Depth=2
	s_delay_alu instid0(SALU_CYCLE_1)
	s_cmp_gt_u32 s26, 7
	s_cbranch_scc1 .LBB1_304
; %bb.300:                              ;   in Loop: Header=BB1_278 Depth=2
	v_mov_b64_e32 v[22:23], 0
	s_cmp_eq_u32 s26, 0
	s_cbranch_scc1 .LBB1_303
; %bb.301:                              ;   in Loop: Header=BB1_278 Depth=2
	s_wait_xcnt 0x0
	s_mov_b64 s[18:19], 0
	s_mov_b64 s[20:21], 0
.LBB1_302:                              ;   Parent Loop BB1_249 Depth=1
                                        ;     Parent Loop BB1_278 Depth=2
                                        ; =>    This Inner Loop Header: Depth=3
	s_wait_xcnt 0x0
	s_add_nc_u64 s[28:29], s[0:1], s[20:21]
	s_add_nc_u64 s[20:21], s[20:21], 1
	global_load_u8 v0, v1, s[28:29]
	s_cmp_lg_u32 s26, s20
	s_wait_loadcnt 0x0
	v_and_b32_e32 v0, 0xffff, v0
	s_delay_alu instid0(VALU_DEP_1) | instskip(SKIP_1) | instid1(VALU_DEP_1)
	v_lshlrev_b64_e32 v[24:25], s18, v[0:1]
	s_add_nc_u64 s[18:19], s[18:19], 8
	v_or_b32_e32 v22, v24, v22
	s_delay_alu instid0(VALU_DEP_2)
	v_or_b32_e32 v23, v25, v23
	s_cbranch_scc1 .LBB1_302
.LBB1_303:                              ;   in Loop: Header=BB1_278 Depth=2
	s_wait_xcnt 0x0
	s_mov_b64 s[18:19], s[0:1]
	s_mov_b32 s27, 0
	s_cbranch_execz .LBB1_305
	s_branch .LBB1_306
.LBB1_304:                              ;   in Loop: Header=BB1_278 Depth=2
	s_wait_xcnt 0x0
	s_add_nc_u64 s[18:19], s[0:1], 8
                                        ; implicit-def: $vgpr22_vgpr23
	s_mov_b32 s27, 0
.LBB1_305:                              ;   in Loop: Header=BB1_278 Depth=2
	global_load_b64 v[22:23], v1, s[0:1]
	s_add_co_i32 s27, s26, -8
.LBB1_306:                              ;   in Loop: Header=BB1_278 Depth=2
	s_delay_alu instid0(SALU_CYCLE_1)
	s_cmp_gt_u32 s27, 7
	s_cbranch_scc1 .LBB1_311
; %bb.307:                              ;   in Loop: Header=BB1_278 Depth=2
	v_mov_b64_e32 v[24:25], 0
	s_cmp_eq_u32 s27, 0
	s_cbranch_scc1 .LBB1_310
; %bb.308:                              ;   in Loop: Header=BB1_278 Depth=2
	s_wait_xcnt 0x0
	s_mov_b64 s[0:1], 0
	s_mov_b64 s[20:21], 0
.LBB1_309:                              ;   Parent Loop BB1_249 Depth=1
                                        ;     Parent Loop BB1_278 Depth=2
                                        ; =>    This Inner Loop Header: Depth=3
	s_wait_xcnt 0x0
	s_add_nc_u64 s[28:29], s[18:19], s[20:21]
	s_add_nc_u64 s[20:21], s[20:21], 1
	global_load_u8 v0, v1, s[28:29]
	s_cmp_lg_u32 s27, s20
	s_wait_loadcnt 0x0
	v_and_b32_e32 v0, 0xffff, v0
	s_delay_alu instid0(VALU_DEP_1) | instskip(SKIP_1) | instid1(VALU_DEP_1)
	v_lshlrev_b64_e32 v[26:27], s0, v[0:1]
	s_add_nc_u64 s[0:1], s[0:1], 8
	v_or_b32_e32 v24, v26, v24
	s_delay_alu instid0(VALU_DEP_2)
	v_or_b32_e32 v25, v27, v25
	s_cbranch_scc1 .LBB1_309
.LBB1_310:                              ;   in Loop: Header=BB1_278 Depth=2
	s_wait_xcnt 0x0
	s_mov_b64 s[0:1], s[18:19]
	s_mov_b32 s26, 0
	s_cbranch_execz .LBB1_312
	s_branch .LBB1_313
.LBB1_311:                              ;   in Loop: Header=BB1_278 Depth=2
	s_wait_xcnt 0x0
	s_add_nc_u64 s[0:1], s[18:19], 8
	s_mov_b32 s26, 0
.LBB1_312:                              ;   in Loop: Header=BB1_278 Depth=2
	global_load_b64 v[24:25], v1, s[18:19]
	s_add_co_i32 s26, s27, -8
.LBB1_313:                              ;   in Loop: Header=BB1_278 Depth=2
	s_delay_alu instid0(SALU_CYCLE_1)
	s_cmp_gt_u32 s26, 7
	s_cbranch_scc1 .LBB1_318
; %bb.314:                              ;   in Loop: Header=BB1_278 Depth=2
	v_mov_b64_e32 v[26:27], 0
	s_cmp_eq_u32 s26, 0
	s_cbranch_scc1 .LBB1_317
; %bb.315:                              ;   in Loop: Header=BB1_278 Depth=2
	s_wait_xcnt 0x0
	s_mov_b64 s[18:19], 0
	s_mov_b64 s[20:21], 0
.LBB1_316:                              ;   Parent Loop BB1_249 Depth=1
                                        ;     Parent Loop BB1_278 Depth=2
                                        ; =>    This Inner Loop Header: Depth=3
	s_wait_xcnt 0x0
	s_add_nc_u64 s[28:29], s[0:1], s[20:21]
	s_add_nc_u64 s[20:21], s[20:21], 1
	global_load_u8 v0, v1, s[28:29]
	s_cmp_lg_u32 s26, s20
	s_wait_loadcnt 0x0
	v_and_b32_e32 v0, 0xffff, v0
	s_delay_alu instid0(VALU_DEP_1) | instskip(SKIP_1) | instid1(VALU_DEP_1)
	v_lshlrev_b64_e32 v[28:29], s18, v[0:1]
	s_add_nc_u64 s[18:19], s[18:19], 8
	v_or_b32_e32 v26, v28, v26
	s_delay_alu instid0(VALU_DEP_2)
	v_or_b32_e32 v27, v29, v27
	s_cbranch_scc1 .LBB1_316
.LBB1_317:                              ;   in Loop: Header=BB1_278 Depth=2
	s_wait_xcnt 0x0
	s_mov_b64 s[18:19], s[0:1]
	s_mov_b32 s27, 0
	s_cbranch_execz .LBB1_319
	s_branch .LBB1_320
.LBB1_318:                              ;   in Loop: Header=BB1_278 Depth=2
	s_wait_xcnt 0x0
	s_add_nc_u64 s[18:19], s[0:1], 8
                                        ; implicit-def: $vgpr26_vgpr27
	s_mov_b32 s27, 0
.LBB1_319:                              ;   in Loop: Header=BB1_278 Depth=2
	global_load_b64 v[26:27], v1, s[0:1]
	s_add_co_i32 s27, s26, -8
.LBB1_320:                              ;   in Loop: Header=BB1_278 Depth=2
	s_delay_alu instid0(SALU_CYCLE_1)
	s_cmp_gt_u32 s27, 7
	s_cbranch_scc1 .LBB1_325
; %bb.321:                              ;   in Loop: Header=BB1_278 Depth=2
	v_mov_b64_e32 v[28:29], 0
	s_cmp_eq_u32 s27, 0
	s_cbranch_scc1 .LBB1_324
; %bb.322:                              ;   in Loop: Header=BB1_278 Depth=2
	s_wait_xcnt 0x0
	s_mov_b64 s[0:1], 0
	s_mov_b64 s[20:21], s[18:19]
.LBB1_323:                              ;   Parent Loop BB1_249 Depth=1
                                        ;     Parent Loop BB1_278 Depth=2
                                        ; =>    This Inner Loop Header: Depth=3
	global_load_u8 v0, v1, s[20:21]
	s_add_co_i32 s27, s27, -1
	s_wait_xcnt 0x0
	s_add_nc_u64 s[20:21], s[20:21], 1
	s_cmp_lg_u32 s27, 0
	s_wait_loadcnt 0x0
	v_and_b32_e32 v0, 0xffff, v0
	s_delay_alu instid0(VALU_DEP_1) | instskip(SKIP_1) | instid1(VALU_DEP_1)
	v_lshlrev_b64_e32 v[30:31], s0, v[0:1]
	s_add_nc_u64 s[0:1], s[0:1], 8
	v_or_b32_e32 v28, v30, v28
	s_delay_alu instid0(VALU_DEP_2)
	v_or_b32_e32 v29, v31, v29
	s_cbranch_scc1 .LBB1_323
.LBB1_324:                              ;   in Loop: Header=BB1_278 Depth=2
	s_wait_xcnt 0x0
	s_cbranch_execz .LBB1_326
	s_branch .LBB1_327
.LBB1_325:                              ;   in Loop: Header=BB1_278 Depth=2
	s_wait_xcnt 0x0
.LBB1_326:                              ;   in Loop: Header=BB1_278 Depth=2
	global_load_b64 v[28:29], v1, s[18:19]
.LBB1_327:                              ;   in Loop: Header=BB1_278 Depth=2
	v_readfirstlane_b32 s0, v34
	v_mov_b64_e32 v[42:43], 0
	s_delay_alu instid0(VALU_DEP_2)
	v_cmp_eq_u32_e64 s0, s0, v34
	s_wait_xcnt 0x0
	s_and_saveexec_b32 s1, s0
	s_cbranch_execz .LBB1_333
; %bb.328:                              ;   in Loop: Header=BB1_278 Depth=2
	global_load_b64 v[32:33], v1, s[2:3] offset:24 scope:SCOPE_SYS
	s_wait_loadcnt 0x0
	global_inv scope:SCOPE_SYS
	s_clause 0x1
	global_load_b64 v[30:31], v1, s[2:3] offset:40
	global_load_b64 v[42:43], v1, s[2:3]
	s_mov_b32 s18, exec_lo
	s_wait_loadcnt 0x1
	v_and_b32_e32 v30, v30, v32
	v_and_b32_e32 v31, v31, v33
	s_delay_alu instid0(VALU_DEP_1) | instskip(SKIP_1) | instid1(VALU_DEP_1)
	v_mul_u64_e32 v[30:31], 24, v[30:31]
	s_wait_loadcnt 0x0
	v_add_nc_u64_e32 v[30:31], v[42:43], v[30:31]
	global_load_b64 v[30:31], v[30:31], off scope:SCOPE_SYS
	s_wait_xcnt 0x0
	s_wait_loadcnt 0x0
	global_atomic_cmpswap_b64 v[42:43], v1, v[30:33], s[2:3] offset:24 th:TH_ATOMIC_RETURN scope:SCOPE_SYS
	s_wait_loadcnt 0x0
	global_inv scope:SCOPE_SYS
	s_wait_xcnt 0x0
	v_cmpx_ne_u64_e64 v[42:43], v[32:33]
	s_cbranch_execz .LBB1_332
; %bb.329:                              ;   in Loop: Header=BB1_278 Depth=2
	s_mov_b32 s19, 0
.LBB1_330:                              ;   Parent Loop BB1_249 Depth=1
                                        ;     Parent Loop BB1_278 Depth=2
                                        ; =>    This Inner Loop Header: Depth=3
	s_sleep 1
	s_clause 0x1
	global_load_b64 v[30:31], v1, s[2:3] offset:40
	global_load_b64 v[44:45], v1, s[2:3]
	v_mov_b64_e32 v[32:33], v[42:43]
	s_wait_loadcnt 0x1
	s_delay_alu instid0(VALU_DEP_1) | instskip(SKIP_1) | instid1(VALU_DEP_1)
	v_and_b32_e32 v0, v30, v32
	s_wait_loadcnt 0x0
	v_mad_nc_u64_u32 v[42:43], v0, 24, v[44:45]
	s_delay_alu instid0(VALU_DEP_3) | instskip(NEXT) | instid1(VALU_DEP_1)
	v_and_b32_e32 v0, v31, v33
	v_mad_u32 v43, v0, 24, v43
	global_load_b64 v[30:31], v[42:43], off scope:SCOPE_SYS
	s_wait_xcnt 0x0
	s_wait_loadcnt 0x0
	global_atomic_cmpswap_b64 v[42:43], v1, v[30:33], s[2:3] offset:24 th:TH_ATOMIC_RETURN scope:SCOPE_SYS
	s_wait_loadcnt 0x0
	global_inv scope:SCOPE_SYS
	v_cmp_eq_u64_e32 vcc_lo, v[42:43], v[32:33]
	s_or_b32 s19, vcc_lo, s19
	s_wait_xcnt 0x0
	s_and_not1_b32 exec_lo, exec_lo, s19
	s_cbranch_execnz .LBB1_330
; %bb.331:                              ;   in Loop: Header=BB1_278 Depth=2
	s_or_b32 exec_lo, exec_lo, s19
.LBB1_332:                              ;   in Loop: Header=BB1_278 Depth=2
	s_delay_alu instid0(SALU_CYCLE_1)
	s_or_b32 exec_lo, exec_lo, s18
.LBB1_333:                              ;   in Loop: Header=BB1_278 Depth=2
	s_delay_alu instid0(SALU_CYCLE_1)
	s_or_b32 exec_lo, exec_lo, s1
	s_clause 0x1
	global_load_b64 v[44:45], v1, s[2:3] offset:40
	global_load_b128 v[30:33], v1, s[2:3]
	v_readfirstlane_b32 s18, v42
	v_readfirstlane_b32 s19, v43
	s_mov_b32 s1, exec_lo
	s_wait_loadcnt 0x1
	v_and_b32_e32 v44, s18, v44
	v_and_b32_e32 v45, s19, v45
	s_delay_alu instid0(VALU_DEP_1) | instskip(SKIP_1) | instid1(VALU_DEP_1)
	v_mul_u64_e32 v[42:43], 24, v[44:45]
	s_wait_loadcnt 0x0
	v_add_nc_u64_e32 v[42:43], v[30:31], v[42:43]
	s_wait_xcnt 0x0
	s_and_saveexec_b32 s20, s0
	s_cbranch_execz .LBB1_335
; %bb.334:                              ;   in Loop: Header=BB1_278 Depth=2
	v_mov_b32_e32 v0, s1
	global_store_b128 v[42:43], v[0:3], off offset:8
.LBB1_335:                              ;   in Loop: Header=BB1_278 Depth=2
	s_wait_xcnt 0x0
	s_or_b32 exec_lo, exec_lo, s20
	v_cmp_lt_u64_e64 vcc_lo, s[12:13], 57
	v_lshlrev_b64_e32 v[44:45], 12, v[44:45]
	v_and_b32_e32 v12, 0xffffff1f, v12
	s_lshl_b32 s1, s16, 2
	s_delay_alu instid0(SALU_CYCLE_1) | instskip(SKIP_1) | instid1(VALU_DEP_3)
	s_add_co_i32 s1, s1, 28
	v_cndmask_b32_e32 v0, 0, v40, vcc_lo
	v_add_nc_u64_e32 v[32:33], v[32:33], v[44:45]
	s_delay_alu instid0(VALU_DEP_2) | instskip(NEXT) | instid1(VALU_DEP_2)
	v_or_b32_e32 v0, v12, v0
	v_readfirstlane_b32 s20, v32
	s_delay_alu instid0(VALU_DEP_3) | instskip(NEXT) | instid1(VALU_DEP_3)
	v_readfirstlane_b32 s21, v33
	v_and_or_b32 v12, 0x1e0, s1, v0
	s_clause 0x3
	global_store_b128 v36, v[12:15], s[20:21]
	global_store_b128 v36, v[18:21], s[20:21] offset:16
	global_store_b128 v36, v[22:25], s[20:21] offset:32
	;; [unrolled: 1-line block ×3, first 2 shown]
	s_wait_xcnt 0x0
	s_and_saveexec_b32 s1, s0
	s_cbranch_execz .LBB1_343
; %bb.336:                              ;   in Loop: Header=BB1_278 Depth=2
	s_clause 0x1
	global_load_b64 v[22:23], v1, s[2:3] offset:32 scope:SCOPE_SYS
	global_load_b64 v[12:13], v1, s[2:3] offset:40
	s_mov_b32 s20, exec_lo
	v_dual_mov_b32 v20, s18 :: v_dual_mov_b32 v21, s19
	s_wait_loadcnt 0x0
	v_and_b32_e32 v13, s19, v13
	v_and_b32_e32 v12, s18, v12
	s_delay_alu instid0(VALU_DEP_1) | instskip(NEXT) | instid1(VALU_DEP_1)
	v_mul_u64_e32 v[12:13], 24, v[12:13]
	v_add_nc_u64_e32 v[18:19], v[30:31], v[12:13]
	global_store_b64 v[18:19], v[22:23], off
	global_wb scope:SCOPE_SYS
	s_wait_storecnt 0x0
	s_wait_xcnt 0x0
	global_atomic_cmpswap_b64 v[14:15], v1, v[20:23], s[2:3] offset:32 th:TH_ATOMIC_RETURN scope:SCOPE_SYS
	s_wait_loadcnt 0x0
	v_cmpx_ne_u64_e64 v[14:15], v[22:23]
	s_cbranch_execz .LBB1_339
; %bb.337:                              ;   in Loop: Header=BB1_278 Depth=2
	s_mov_b32 s21, 0
.LBB1_338:                              ;   Parent Loop BB1_249 Depth=1
                                        ;     Parent Loop BB1_278 Depth=2
                                        ; =>    This Inner Loop Header: Depth=3
	v_dual_mov_b32 v12, s18 :: v_dual_mov_b32 v13, s19
	s_sleep 1
	global_store_b64 v[18:19], v[14:15], off
	global_wb scope:SCOPE_SYS
	s_wait_storecnt 0x0
	s_wait_xcnt 0x0
	global_atomic_cmpswap_b64 v[12:13], v1, v[12:15], s[2:3] offset:32 th:TH_ATOMIC_RETURN scope:SCOPE_SYS
	s_wait_loadcnt 0x0
	v_cmp_eq_u64_e32 vcc_lo, v[12:13], v[14:15]
	v_mov_b64_e32 v[14:15], v[12:13]
	s_or_b32 s21, vcc_lo, s21
	s_delay_alu instid0(SALU_CYCLE_1)
	s_and_not1_b32 exec_lo, exec_lo, s21
	s_cbranch_execnz .LBB1_338
.LBB1_339:                              ;   in Loop: Header=BB1_278 Depth=2
	s_or_b32 exec_lo, exec_lo, s20
	global_load_b64 v[12:13], v1, s[2:3] offset:16
	s_mov_b32 s21, exec_lo
	s_mov_b32 s20, exec_lo
	v_mbcnt_lo_u32_b32 v0, s21, 0
	s_wait_xcnt 0x0
	s_delay_alu instid0(VALU_DEP_1)
	v_cmpx_eq_u32_e32 0, v0
	s_cbranch_execz .LBB1_341
; %bb.340:                              ;   in Loop: Header=BB1_278 Depth=2
	s_bcnt1_i32_b32 s21, s21
	s_delay_alu instid0(SALU_CYCLE_1)
	v_mov_b32_e32 v0, s21
	global_wb scope:SCOPE_SYS
	s_wait_loadcnt 0x0
	s_wait_storecnt 0x0
	global_atomic_add_u64 v[12:13], v[0:1], off offset:8 scope:SCOPE_SYS
.LBB1_341:                              ;   in Loop: Header=BB1_278 Depth=2
	s_wait_xcnt 0x0
	s_or_b32 exec_lo, exec_lo, s20
	s_wait_loadcnt 0x0
	global_load_b64 v[14:15], v[12:13], off offset:16
	s_wait_loadcnt 0x0
	v_cmp_eq_u64_e32 vcc_lo, 0, v[14:15]
	s_cbranch_vccnz .LBB1_343
; %bb.342:                              ;   in Loop: Header=BB1_278 Depth=2
	global_load_b32 v0, v[12:13], off offset:24
	s_wait_loadcnt 0x0
	v_readfirstlane_b32 s20, v0
	global_wb scope:SCOPE_SYS
	s_wait_storecnt 0x0
	s_wait_xcnt 0x0
	global_store_b64 v[14:15], v[0:1], off scope:SCOPE_SYS
	s_and_b32 m0, s20, 0xffffff
	s_sendmsg sendmsg(MSG_INTERRUPT)
.LBB1_343:                              ;   in Loop: Header=BB1_278 Depth=2
	s_wait_xcnt 0x0
	s_or_b32 exec_lo, exec_lo, s1
	v_mov_b32_e32 v37, v1
	s_delay_alu instid0(VALU_DEP_1)
	v_add_nc_u64_e32 v[12:13], v[32:33], v[36:37]
	s_branch .LBB1_347
.LBB1_344:                              ;   in Loop: Header=BB1_347 Depth=3
	s_wait_xcnt 0x0
	s_or_b32 exec_lo, exec_lo, s1
	s_delay_alu instid0(VALU_DEP_1)
	v_readfirstlane_b32 s1, v0
	s_cmp_eq_u32 s1, 0
	s_cbranch_scc1 .LBB1_346
; %bb.345:                              ;   in Loop: Header=BB1_347 Depth=3
	s_sleep 1
	s_cbranch_execnz .LBB1_347
	s_branch .LBB1_349
.LBB1_346:                              ;   in Loop: Header=BB1_278 Depth=2
	s_branch .LBB1_349
.LBB1_347:                              ;   Parent Loop BB1_249 Depth=1
                                        ;     Parent Loop BB1_278 Depth=2
                                        ; =>    This Inner Loop Header: Depth=3
	v_mov_b32_e32 v0, 1
	s_and_saveexec_b32 s1, s0
	s_cbranch_execz .LBB1_344
; %bb.348:                              ;   in Loop: Header=BB1_347 Depth=3
	global_load_b32 v0, v[42:43], off offset:20 scope:SCOPE_SYS
	s_wait_loadcnt 0x0
	global_inv scope:SCOPE_SYS
	v_and_b32_e32 v0, 1, v0
	s_branch .LBB1_344
.LBB1_349:                              ;   in Loop: Header=BB1_278 Depth=2
	global_load_b64 v[12:13], v[12:13], off
	s_wait_xcnt 0x0
	s_and_saveexec_b32 s20, s0
	s_cbranch_execz .LBB1_277
; %bb.350:                              ;   in Loop: Header=BB1_278 Depth=2
	s_clause 0x2
	global_load_b64 v[14:15], v1, s[2:3] offset:40
	global_load_b64 v[22:23], v1, s[2:3] offset:24 scope:SCOPE_SYS
	global_load_b64 v[18:19], v1, s[2:3]
	s_wait_loadcnt 0x2
	v_readfirstlane_b32 s26, v14
	v_readfirstlane_b32 s27, v15
	s_add_nc_u64 s[0:1], s[26:27], 1
	s_delay_alu instid0(SALU_CYCLE_1) | instskip(NEXT) | instid1(SALU_CYCLE_1)
	s_add_nc_u64 s[18:19], s[0:1], s[18:19]
	s_cmp_eq_u64 s[18:19], 0
	s_cselect_b32 s1, s1, s19
	s_cselect_b32 s0, s0, s18
	s_delay_alu instid0(SALU_CYCLE_1) | instskip(SKIP_1) | instid1(SALU_CYCLE_1)
	v_dual_mov_b32 v21, s1 :: v_dual_mov_b32 v20, s0
	s_and_b64 s[18:19], s[0:1], s[26:27]
	s_mul_u64 s[18:19], s[18:19], 24
	s_wait_loadcnt 0x0
	v_add_nc_u64_e32 v[14:15], s[18:19], v[18:19]
	global_store_b64 v[14:15], v[22:23], off
	global_wb scope:SCOPE_SYS
	s_wait_storecnt 0x0
	s_wait_xcnt 0x0
	global_atomic_cmpswap_b64 v[20:21], v1, v[20:23], s[2:3] offset:24 th:TH_ATOMIC_RETURN scope:SCOPE_SYS
	s_wait_loadcnt 0x0
	v_cmp_ne_u64_e32 vcc_lo, v[20:21], v[22:23]
	s_and_b32 exec_lo, exec_lo, vcc_lo
	s_cbranch_execz .LBB1_277
; %bb.351:                              ;   in Loop: Header=BB1_278 Depth=2
	s_mov_b32 s18, 0
.LBB1_352:                              ;   Parent Loop BB1_249 Depth=1
                                        ;     Parent Loop BB1_278 Depth=2
                                        ; =>    This Inner Loop Header: Depth=3
	v_dual_mov_b32 v18, s0 :: v_dual_mov_b32 v19, s1
	s_sleep 1
	global_store_b64 v[14:15], v[20:21], off
	global_wb scope:SCOPE_SYS
	s_wait_storecnt 0x0
	s_wait_xcnt 0x0
	global_atomic_cmpswap_b64 v[18:19], v1, v[18:21], s[2:3] offset:24 th:TH_ATOMIC_RETURN scope:SCOPE_SYS
	s_wait_loadcnt 0x0
	v_cmp_eq_u64_e32 vcc_lo, v[18:19], v[20:21]
	v_mov_b64_e32 v[20:21], v[18:19]
	s_or_b32 s18, vcc_lo, s18
	s_delay_alu instid0(SALU_CYCLE_1)
	s_and_not1_b32 exec_lo, exec_lo, s18
	s_cbranch_execnz .LBB1_352
	s_branch .LBB1_277
.LBB1_353:                              ;   in Loop: Header=BB1_249 Depth=1
.LBB1_354:                              ;   in Loop: Header=BB1_249 Depth=1
	s_and_b32 vcc_lo, exec_lo, s23
	s_cbranch_vccz .LBB1_461
.LBB1_355:                              ;   in Loop: Header=BB1_249 Depth=1
	s_wait_loadcnt 0x0
	v_dual_mov_b32 v15, v13 :: v_dual_bitop2_b32 v14, -3, v12 bitop3:0x40
	s_mov_b64 s[12:13], 56
	s_mov_b64 s[14:15], s[10:11]
	s_branch .LBB1_357
.LBB1_356:                              ;   in Loop: Header=BB1_357 Depth=2
	s_or_b32 exec_lo, exec_lo, s20
	s_sub_nc_u64 s[12:13], s[12:13], s[16:17]
	s_add_nc_u64 s[14:15], s[14:15], s[16:17]
	s_cmp_lg_u64 s[12:13], 0
	s_cbranch_scc0 .LBB1_432
.LBB1_357:                              ;   Parent Loop BB1_249 Depth=1
                                        ; =>  This Loop Header: Depth=2
                                        ;       Child Loop BB1_360 Depth 3
                                        ;       Child Loop BB1_367 Depth 3
	;; [unrolled: 1-line block ×11, first 2 shown]
	s_wait_loadcnt 0x0
	v_min_u64 v[16:17], s[12:13], 56
	v_cmp_gt_u64_e64 s0, s[12:13], 7
	s_and_b32 vcc_lo, exec_lo, s0
	v_readfirstlane_b32 s16, v16
	v_readfirstlane_b32 s17, v17
	s_cbranch_vccnz .LBB1_362
; %bb.358:                              ;   in Loop: Header=BB1_357 Depth=2
	v_mov_b64_e32 v[16:17], 0
	s_cmp_eq_u64 s[12:13], 0
	s_cbranch_scc1 .LBB1_361
; %bb.359:                              ;   in Loop: Header=BB1_357 Depth=2
	s_mov_b64 s[0:1], 0
	s_mov_b64 s[18:19], 0
.LBB1_360:                              ;   Parent Loop BB1_249 Depth=1
                                        ;     Parent Loop BB1_357 Depth=2
                                        ; =>    This Inner Loop Header: Depth=3
	s_wait_xcnt 0x0
	s_add_nc_u64 s[20:21], s[14:15], s[18:19]
	s_add_nc_u64 s[18:19], s[18:19], 1
	global_load_u8 v0, v1, s[20:21]
	s_cmp_lg_u32 s16, s18
	s_wait_loadcnt 0x0
	v_and_b32_e32 v0, 0xffff, v0
	s_delay_alu instid0(VALU_DEP_1) | instskip(SKIP_1) | instid1(VALU_DEP_1)
	v_lshlrev_b64_e32 v[18:19], s0, v[0:1]
	s_add_nc_u64 s[0:1], s[0:1], 8
	v_or_b32_e32 v16, v18, v16
	s_delay_alu instid0(VALU_DEP_2)
	v_or_b32_e32 v17, v19, v17
	s_cbranch_scc1 .LBB1_360
.LBB1_361:                              ;   in Loop: Header=BB1_357 Depth=2
	s_mov_b64 s[0:1], s[14:15]
	s_mov_b32 s26, 0
	s_cbranch_execz .LBB1_363
	s_branch .LBB1_364
.LBB1_362:                              ;   in Loop: Header=BB1_357 Depth=2
	s_add_nc_u64 s[0:1], s[14:15], 8
	s_mov_b32 s26, 0
.LBB1_363:                              ;   in Loop: Header=BB1_357 Depth=2
	global_load_b64 v[16:17], v1, s[14:15]
	s_add_co_i32 s26, s16, -8
.LBB1_364:                              ;   in Loop: Header=BB1_357 Depth=2
	s_delay_alu instid0(SALU_CYCLE_1)
	s_cmp_gt_u32 s26, 7
	s_cbranch_scc1 .LBB1_369
; %bb.365:                              ;   in Loop: Header=BB1_357 Depth=2
	v_mov_b64_e32 v[18:19], 0
	s_cmp_eq_u32 s26, 0
	s_cbranch_scc1 .LBB1_368
; %bb.366:                              ;   in Loop: Header=BB1_357 Depth=2
	s_mov_b64 s[18:19], 0
	s_wait_xcnt 0x0
	s_mov_b64 s[20:21], 0
.LBB1_367:                              ;   Parent Loop BB1_249 Depth=1
                                        ;     Parent Loop BB1_357 Depth=2
                                        ; =>    This Inner Loop Header: Depth=3
	s_wait_xcnt 0x0
	s_add_nc_u64 s[28:29], s[0:1], s[20:21]
	s_add_nc_u64 s[20:21], s[20:21], 1
	global_load_u8 v0, v1, s[28:29]
	s_cmp_lg_u32 s26, s20
	s_wait_loadcnt 0x0
	v_and_b32_e32 v0, 0xffff, v0
	s_delay_alu instid0(VALU_DEP_1) | instskip(SKIP_1) | instid1(VALU_DEP_1)
	v_lshlrev_b64_e32 v[20:21], s18, v[0:1]
	s_add_nc_u64 s[18:19], s[18:19], 8
	v_or_b32_e32 v18, v20, v18
	s_delay_alu instid0(VALU_DEP_2)
	v_or_b32_e32 v19, v21, v19
	s_cbranch_scc1 .LBB1_367
.LBB1_368:                              ;   in Loop: Header=BB1_357 Depth=2
	s_wait_xcnt 0x0
	s_mov_b64 s[18:19], s[0:1]
	s_mov_b32 s27, 0
	s_cbranch_execz .LBB1_370
	s_branch .LBB1_371
.LBB1_369:                              ;   in Loop: Header=BB1_357 Depth=2
	s_add_nc_u64 s[18:19], s[0:1], 8
	s_wait_xcnt 0x0
                                        ; implicit-def: $vgpr18_vgpr19
	s_mov_b32 s27, 0
.LBB1_370:                              ;   in Loop: Header=BB1_357 Depth=2
	global_load_b64 v[18:19], v1, s[0:1]
	s_add_co_i32 s27, s26, -8
.LBB1_371:                              ;   in Loop: Header=BB1_357 Depth=2
	s_delay_alu instid0(SALU_CYCLE_1)
	s_cmp_gt_u32 s27, 7
	s_cbranch_scc1 .LBB1_376
; %bb.372:                              ;   in Loop: Header=BB1_357 Depth=2
	v_mov_b64_e32 v[20:21], 0
	s_cmp_eq_u32 s27, 0
	s_cbranch_scc1 .LBB1_375
; %bb.373:                              ;   in Loop: Header=BB1_357 Depth=2
	s_wait_xcnt 0x0
	s_mov_b64 s[0:1], 0
	s_mov_b64 s[20:21], 0
.LBB1_374:                              ;   Parent Loop BB1_249 Depth=1
                                        ;     Parent Loop BB1_357 Depth=2
                                        ; =>    This Inner Loop Header: Depth=3
	s_wait_xcnt 0x0
	s_add_nc_u64 s[28:29], s[18:19], s[20:21]
	s_add_nc_u64 s[20:21], s[20:21], 1
	global_load_u8 v0, v1, s[28:29]
	s_cmp_lg_u32 s27, s20
	s_wait_loadcnt 0x0
	v_and_b32_e32 v0, 0xffff, v0
	s_delay_alu instid0(VALU_DEP_1) | instskip(SKIP_1) | instid1(VALU_DEP_1)
	v_lshlrev_b64_e32 v[22:23], s0, v[0:1]
	s_add_nc_u64 s[0:1], s[0:1], 8
	v_or_b32_e32 v20, v22, v20
	s_delay_alu instid0(VALU_DEP_2)
	v_or_b32_e32 v21, v23, v21
	s_cbranch_scc1 .LBB1_374
.LBB1_375:                              ;   in Loop: Header=BB1_357 Depth=2
	s_wait_xcnt 0x0
	s_mov_b64 s[0:1], s[18:19]
	s_mov_b32 s26, 0
	s_cbranch_execz .LBB1_377
	s_branch .LBB1_378
.LBB1_376:                              ;   in Loop: Header=BB1_357 Depth=2
	s_wait_xcnt 0x0
	s_add_nc_u64 s[0:1], s[18:19], 8
	s_mov_b32 s26, 0
.LBB1_377:                              ;   in Loop: Header=BB1_357 Depth=2
	global_load_b64 v[20:21], v1, s[18:19]
	s_add_co_i32 s26, s27, -8
.LBB1_378:                              ;   in Loop: Header=BB1_357 Depth=2
	s_delay_alu instid0(SALU_CYCLE_1)
	s_cmp_gt_u32 s26, 7
	s_cbranch_scc1 .LBB1_383
; %bb.379:                              ;   in Loop: Header=BB1_357 Depth=2
	v_mov_b64_e32 v[22:23], 0
	s_cmp_eq_u32 s26, 0
	s_cbranch_scc1 .LBB1_382
; %bb.380:                              ;   in Loop: Header=BB1_357 Depth=2
	s_wait_xcnt 0x0
	s_mov_b64 s[18:19], 0
	s_mov_b64 s[20:21], 0
.LBB1_381:                              ;   Parent Loop BB1_249 Depth=1
                                        ;     Parent Loop BB1_357 Depth=2
                                        ; =>    This Inner Loop Header: Depth=3
	s_wait_xcnt 0x0
	s_add_nc_u64 s[28:29], s[0:1], s[20:21]
	s_add_nc_u64 s[20:21], s[20:21], 1
	global_load_u8 v0, v1, s[28:29]
	s_cmp_lg_u32 s26, s20
	s_wait_loadcnt 0x0
	v_and_b32_e32 v0, 0xffff, v0
	s_delay_alu instid0(VALU_DEP_1) | instskip(SKIP_1) | instid1(VALU_DEP_1)
	v_lshlrev_b64_e32 v[24:25], s18, v[0:1]
	s_add_nc_u64 s[18:19], s[18:19], 8
	v_or_b32_e32 v22, v24, v22
	s_delay_alu instid0(VALU_DEP_2)
	v_or_b32_e32 v23, v25, v23
	s_cbranch_scc1 .LBB1_381
.LBB1_382:                              ;   in Loop: Header=BB1_357 Depth=2
	s_wait_xcnt 0x0
	s_mov_b64 s[18:19], s[0:1]
	s_mov_b32 s27, 0
	s_cbranch_execz .LBB1_384
	s_branch .LBB1_385
.LBB1_383:                              ;   in Loop: Header=BB1_357 Depth=2
	s_wait_xcnt 0x0
	s_add_nc_u64 s[18:19], s[0:1], 8
                                        ; implicit-def: $vgpr22_vgpr23
	s_mov_b32 s27, 0
.LBB1_384:                              ;   in Loop: Header=BB1_357 Depth=2
	global_load_b64 v[22:23], v1, s[0:1]
	s_add_co_i32 s27, s26, -8
.LBB1_385:                              ;   in Loop: Header=BB1_357 Depth=2
	s_delay_alu instid0(SALU_CYCLE_1)
	s_cmp_gt_u32 s27, 7
	s_cbranch_scc1 .LBB1_390
; %bb.386:                              ;   in Loop: Header=BB1_357 Depth=2
	v_mov_b64_e32 v[24:25], 0
	s_cmp_eq_u32 s27, 0
	s_cbranch_scc1 .LBB1_389
; %bb.387:                              ;   in Loop: Header=BB1_357 Depth=2
	s_wait_xcnt 0x0
	s_mov_b64 s[0:1], 0
	s_mov_b64 s[20:21], 0
.LBB1_388:                              ;   Parent Loop BB1_249 Depth=1
                                        ;     Parent Loop BB1_357 Depth=2
                                        ; =>    This Inner Loop Header: Depth=3
	s_wait_xcnt 0x0
	s_add_nc_u64 s[28:29], s[18:19], s[20:21]
	s_add_nc_u64 s[20:21], s[20:21], 1
	global_load_u8 v0, v1, s[28:29]
	s_cmp_lg_u32 s27, s20
	s_wait_loadcnt 0x0
	v_and_b32_e32 v0, 0xffff, v0
	s_delay_alu instid0(VALU_DEP_1) | instskip(SKIP_1) | instid1(VALU_DEP_1)
	v_lshlrev_b64_e32 v[26:27], s0, v[0:1]
	s_add_nc_u64 s[0:1], s[0:1], 8
	v_or_b32_e32 v24, v26, v24
	s_delay_alu instid0(VALU_DEP_2)
	v_or_b32_e32 v25, v27, v25
	s_cbranch_scc1 .LBB1_388
.LBB1_389:                              ;   in Loop: Header=BB1_357 Depth=2
	s_wait_xcnt 0x0
	s_mov_b64 s[0:1], s[18:19]
	s_mov_b32 s26, 0
	s_cbranch_execz .LBB1_391
	s_branch .LBB1_392
.LBB1_390:                              ;   in Loop: Header=BB1_357 Depth=2
	s_wait_xcnt 0x0
	s_add_nc_u64 s[0:1], s[18:19], 8
	s_mov_b32 s26, 0
.LBB1_391:                              ;   in Loop: Header=BB1_357 Depth=2
	global_load_b64 v[24:25], v1, s[18:19]
	s_add_co_i32 s26, s27, -8
.LBB1_392:                              ;   in Loop: Header=BB1_357 Depth=2
	s_delay_alu instid0(SALU_CYCLE_1)
	s_cmp_gt_u32 s26, 7
	s_cbranch_scc1 .LBB1_397
; %bb.393:                              ;   in Loop: Header=BB1_357 Depth=2
	v_mov_b64_e32 v[26:27], 0
	s_cmp_eq_u32 s26, 0
	s_cbranch_scc1 .LBB1_396
; %bb.394:                              ;   in Loop: Header=BB1_357 Depth=2
	s_wait_xcnt 0x0
	s_mov_b64 s[18:19], 0
	s_mov_b64 s[20:21], 0
.LBB1_395:                              ;   Parent Loop BB1_249 Depth=1
                                        ;     Parent Loop BB1_357 Depth=2
                                        ; =>    This Inner Loop Header: Depth=3
	s_wait_xcnt 0x0
	s_add_nc_u64 s[28:29], s[0:1], s[20:21]
	s_add_nc_u64 s[20:21], s[20:21], 1
	global_load_u8 v0, v1, s[28:29]
	s_cmp_lg_u32 s26, s20
	s_wait_loadcnt 0x0
	v_and_b32_e32 v0, 0xffff, v0
	s_delay_alu instid0(VALU_DEP_1) | instskip(SKIP_1) | instid1(VALU_DEP_1)
	v_lshlrev_b64_e32 v[28:29], s18, v[0:1]
	s_add_nc_u64 s[18:19], s[18:19], 8
	v_or_b32_e32 v26, v28, v26
	s_delay_alu instid0(VALU_DEP_2)
	v_or_b32_e32 v27, v29, v27
	s_cbranch_scc1 .LBB1_395
.LBB1_396:                              ;   in Loop: Header=BB1_357 Depth=2
	s_wait_xcnt 0x0
	s_mov_b64 s[18:19], s[0:1]
	s_mov_b32 s27, 0
	s_cbranch_execz .LBB1_398
	s_branch .LBB1_399
.LBB1_397:                              ;   in Loop: Header=BB1_357 Depth=2
	s_wait_xcnt 0x0
	s_add_nc_u64 s[18:19], s[0:1], 8
                                        ; implicit-def: $vgpr26_vgpr27
	s_mov_b32 s27, 0
.LBB1_398:                              ;   in Loop: Header=BB1_357 Depth=2
	global_load_b64 v[26:27], v1, s[0:1]
	s_add_co_i32 s27, s26, -8
.LBB1_399:                              ;   in Loop: Header=BB1_357 Depth=2
	s_delay_alu instid0(SALU_CYCLE_1)
	s_cmp_gt_u32 s27, 7
	s_cbranch_scc1 .LBB1_404
; %bb.400:                              ;   in Loop: Header=BB1_357 Depth=2
	v_mov_b64_e32 v[28:29], 0
	s_cmp_eq_u32 s27, 0
	s_cbranch_scc1 .LBB1_403
; %bb.401:                              ;   in Loop: Header=BB1_357 Depth=2
	s_wait_xcnt 0x0
	s_mov_b64 s[0:1], 0
	s_mov_b64 s[20:21], s[18:19]
.LBB1_402:                              ;   Parent Loop BB1_249 Depth=1
                                        ;     Parent Loop BB1_357 Depth=2
                                        ; =>    This Inner Loop Header: Depth=3
	global_load_u8 v0, v1, s[20:21]
	s_add_co_i32 s27, s27, -1
	s_wait_xcnt 0x0
	s_add_nc_u64 s[20:21], s[20:21], 1
	s_cmp_lg_u32 s27, 0
	s_wait_loadcnt 0x0
	v_and_b32_e32 v0, 0xffff, v0
	s_delay_alu instid0(VALU_DEP_1) | instskip(SKIP_1) | instid1(VALU_DEP_1)
	v_lshlrev_b64_e32 v[30:31], s0, v[0:1]
	s_add_nc_u64 s[0:1], s[0:1], 8
	v_or_b32_e32 v28, v30, v28
	s_delay_alu instid0(VALU_DEP_2)
	v_or_b32_e32 v29, v31, v29
	s_cbranch_scc1 .LBB1_402
.LBB1_403:                              ;   in Loop: Header=BB1_357 Depth=2
	s_wait_xcnt 0x0
	s_cbranch_execz .LBB1_405
	s_branch .LBB1_406
.LBB1_404:                              ;   in Loop: Header=BB1_357 Depth=2
	s_wait_xcnt 0x0
.LBB1_405:                              ;   in Loop: Header=BB1_357 Depth=2
	global_load_b64 v[28:29], v1, s[18:19]
.LBB1_406:                              ;   in Loop: Header=BB1_357 Depth=2
	v_readfirstlane_b32 s0, v34
	v_mov_b64_e32 v[40:41], 0
	s_delay_alu instid0(VALU_DEP_2)
	v_cmp_eq_u32_e64 s0, s0, v34
	s_wait_xcnt 0x0
	s_and_saveexec_b32 s1, s0
	s_cbranch_execz .LBB1_412
; %bb.407:                              ;   in Loop: Header=BB1_357 Depth=2
	global_load_b64 v[32:33], v1, s[2:3] offset:24 scope:SCOPE_SYS
	s_wait_loadcnt 0x0
	global_inv scope:SCOPE_SYS
	s_clause 0x1
	global_load_b64 v[30:31], v1, s[2:3] offset:40
	global_load_b64 v[40:41], v1, s[2:3]
	s_mov_b32 s18, exec_lo
	s_wait_loadcnt 0x1
	v_and_b32_e32 v30, v30, v32
	v_and_b32_e32 v31, v31, v33
	s_delay_alu instid0(VALU_DEP_1) | instskip(SKIP_1) | instid1(VALU_DEP_1)
	v_mul_u64_e32 v[30:31], 24, v[30:31]
	s_wait_loadcnt 0x0
	v_add_nc_u64_e32 v[30:31], v[40:41], v[30:31]
	global_load_b64 v[30:31], v[30:31], off scope:SCOPE_SYS
	s_wait_xcnt 0x0
	s_wait_loadcnt 0x0
	global_atomic_cmpswap_b64 v[40:41], v1, v[30:33], s[2:3] offset:24 th:TH_ATOMIC_RETURN scope:SCOPE_SYS
	s_wait_loadcnt 0x0
	global_inv scope:SCOPE_SYS
	s_wait_xcnt 0x0
	v_cmpx_ne_u64_e64 v[40:41], v[32:33]
	s_cbranch_execz .LBB1_411
; %bb.408:                              ;   in Loop: Header=BB1_357 Depth=2
	s_mov_b32 s19, 0
.LBB1_409:                              ;   Parent Loop BB1_249 Depth=1
                                        ;     Parent Loop BB1_357 Depth=2
                                        ; =>    This Inner Loop Header: Depth=3
	s_sleep 1
	s_clause 0x1
	global_load_b64 v[30:31], v1, s[2:3] offset:40
	global_load_b64 v[42:43], v1, s[2:3]
	v_mov_b64_e32 v[32:33], v[40:41]
	s_wait_loadcnt 0x1
	s_delay_alu instid0(VALU_DEP_1) | instskip(SKIP_1) | instid1(VALU_DEP_1)
	v_and_b32_e32 v0, v30, v32
	s_wait_loadcnt 0x0
	v_mad_nc_u64_u32 v[40:41], v0, 24, v[42:43]
	s_delay_alu instid0(VALU_DEP_3) | instskip(NEXT) | instid1(VALU_DEP_1)
	v_and_b32_e32 v0, v31, v33
	v_mad_u32 v41, v0, 24, v41
	global_load_b64 v[30:31], v[40:41], off scope:SCOPE_SYS
	s_wait_xcnt 0x0
	s_wait_loadcnt 0x0
	global_atomic_cmpswap_b64 v[40:41], v1, v[30:33], s[2:3] offset:24 th:TH_ATOMIC_RETURN scope:SCOPE_SYS
	s_wait_loadcnt 0x0
	global_inv scope:SCOPE_SYS
	v_cmp_eq_u64_e32 vcc_lo, v[40:41], v[32:33]
	s_or_b32 s19, vcc_lo, s19
	s_wait_xcnt 0x0
	s_and_not1_b32 exec_lo, exec_lo, s19
	s_cbranch_execnz .LBB1_409
; %bb.410:                              ;   in Loop: Header=BB1_357 Depth=2
	s_or_b32 exec_lo, exec_lo, s19
.LBB1_411:                              ;   in Loop: Header=BB1_357 Depth=2
	s_delay_alu instid0(SALU_CYCLE_1)
	s_or_b32 exec_lo, exec_lo, s18
.LBB1_412:                              ;   in Loop: Header=BB1_357 Depth=2
	s_delay_alu instid0(SALU_CYCLE_1)
	s_or_b32 exec_lo, exec_lo, s1
	s_clause 0x1
	global_load_b64 v[42:43], v1, s[2:3] offset:40
	global_load_b128 v[30:33], v1, s[2:3]
	v_readfirstlane_b32 s18, v40
	v_readfirstlane_b32 s19, v41
	s_mov_b32 s1, exec_lo
	s_wait_loadcnt 0x1
	v_and_b32_e32 v42, s18, v42
	v_and_b32_e32 v43, s19, v43
	s_delay_alu instid0(VALU_DEP_1) | instskip(SKIP_1) | instid1(VALU_DEP_1)
	v_mul_u64_e32 v[40:41], 24, v[42:43]
	s_wait_loadcnt 0x0
	v_add_nc_u64_e32 v[40:41], v[30:31], v[40:41]
	s_wait_xcnt 0x0
	s_and_saveexec_b32 s20, s0
	s_cbranch_execz .LBB1_414
; %bb.413:                              ;   in Loop: Header=BB1_357 Depth=2
	v_mov_b32_e32 v0, s1
	global_store_b128 v[40:41], v[0:3], off offset:8
.LBB1_414:                              ;   in Loop: Header=BB1_357 Depth=2
	s_wait_xcnt 0x0
	s_or_b32 exec_lo, exec_lo, s20
	v_cmp_gt_u64_e64 s1, s[12:13], 56
	v_lshlrev_b64_e32 v[42:43], 12, v[42:43]
	v_and_b32_e32 v0, 0xffffff1f, v14
	s_and_b32 s1, s1, exec_lo
	s_delay_alu instid0(VALU_DEP_2) | instskip(SKIP_4) | instid1(VALU_DEP_2)
	v_add_nc_u64_e32 v[32:33], v[32:33], v[42:43]
	s_cselect_b32 s1, 0, 2
	s_lshl_b32 s20, s16, 2
	v_or_b32_e32 v0, s1, v0
	s_add_co_i32 s1, s20, 28
	v_readfirstlane_b32 s20, v32
	s_delay_alu instid0(VALU_DEP_3) | instskip(NEXT) | instid1(VALU_DEP_3)
	v_readfirstlane_b32 s21, v33
	v_and_or_b32 v14, 0x1e0, s1, v0
	s_clause 0x3
	global_store_b128 v36, v[14:17], s[20:21]
	global_store_b128 v36, v[18:21], s[20:21] offset:16
	global_store_b128 v36, v[22:25], s[20:21] offset:32
	;; [unrolled: 1-line block ×3, first 2 shown]
	s_wait_xcnt 0x0
	s_and_saveexec_b32 s1, s0
	s_cbranch_execz .LBB1_422
; %bb.415:                              ;   in Loop: Header=BB1_357 Depth=2
	s_clause 0x1
	global_load_b64 v[22:23], v1, s[2:3] offset:32 scope:SCOPE_SYS
	global_load_b64 v[14:15], v1, s[2:3] offset:40
	s_mov_b32 s20, exec_lo
	v_dual_mov_b32 v20, s18 :: v_dual_mov_b32 v21, s19
	s_wait_loadcnt 0x0
	v_and_b32_e32 v15, s19, v15
	v_and_b32_e32 v14, s18, v14
	s_delay_alu instid0(VALU_DEP_1) | instskip(NEXT) | instid1(VALU_DEP_1)
	v_mul_u64_e32 v[14:15], 24, v[14:15]
	v_add_nc_u64_e32 v[18:19], v[30:31], v[14:15]
	global_store_b64 v[18:19], v[22:23], off
	global_wb scope:SCOPE_SYS
	s_wait_storecnt 0x0
	s_wait_xcnt 0x0
	global_atomic_cmpswap_b64 v[16:17], v1, v[20:23], s[2:3] offset:32 th:TH_ATOMIC_RETURN scope:SCOPE_SYS
	s_wait_loadcnt 0x0
	v_cmpx_ne_u64_e64 v[16:17], v[22:23]
	s_cbranch_execz .LBB1_418
; %bb.416:                              ;   in Loop: Header=BB1_357 Depth=2
	s_mov_b32 s21, 0
.LBB1_417:                              ;   Parent Loop BB1_249 Depth=1
                                        ;     Parent Loop BB1_357 Depth=2
                                        ; =>    This Inner Loop Header: Depth=3
	v_dual_mov_b32 v14, s18 :: v_dual_mov_b32 v15, s19
	s_sleep 1
	global_store_b64 v[18:19], v[16:17], off
	global_wb scope:SCOPE_SYS
	s_wait_storecnt 0x0
	s_wait_xcnt 0x0
	global_atomic_cmpswap_b64 v[14:15], v1, v[14:17], s[2:3] offset:32 th:TH_ATOMIC_RETURN scope:SCOPE_SYS
	s_wait_loadcnt 0x0
	v_cmp_eq_u64_e32 vcc_lo, v[14:15], v[16:17]
	v_mov_b64_e32 v[16:17], v[14:15]
	s_or_b32 s21, vcc_lo, s21
	s_delay_alu instid0(SALU_CYCLE_1)
	s_and_not1_b32 exec_lo, exec_lo, s21
	s_cbranch_execnz .LBB1_417
.LBB1_418:                              ;   in Loop: Header=BB1_357 Depth=2
	s_or_b32 exec_lo, exec_lo, s20
	global_load_b64 v[14:15], v1, s[2:3] offset:16
	s_mov_b32 s21, exec_lo
	s_mov_b32 s20, exec_lo
	v_mbcnt_lo_u32_b32 v0, s21, 0
	s_wait_xcnt 0x0
	s_delay_alu instid0(VALU_DEP_1)
	v_cmpx_eq_u32_e32 0, v0
	s_cbranch_execz .LBB1_420
; %bb.419:                              ;   in Loop: Header=BB1_357 Depth=2
	s_bcnt1_i32_b32 s21, s21
	s_delay_alu instid0(SALU_CYCLE_1)
	v_mov_b32_e32 v0, s21
	global_wb scope:SCOPE_SYS
	s_wait_loadcnt 0x0
	s_wait_storecnt 0x0
	global_atomic_add_u64 v[14:15], v[0:1], off offset:8 scope:SCOPE_SYS
.LBB1_420:                              ;   in Loop: Header=BB1_357 Depth=2
	s_wait_xcnt 0x0
	s_or_b32 exec_lo, exec_lo, s20
	s_wait_loadcnt 0x0
	global_load_b64 v[16:17], v[14:15], off offset:16
	s_wait_loadcnt 0x0
	v_cmp_eq_u64_e32 vcc_lo, 0, v[16:17]
	s_cbranch_vccnz .LBB1_422
; %bb.421:                              ;   in Loop: Header=BB1_357 Depth=2
	global_load_b32 v0, v[14:15], off offset:24
	s_wait_loadcnt 0x0
	v_readfirstlane_b32 s20, v0
	global_wb scope:SCOPE_SYS
	s_wait_storecnt 0x0
	s_wait_xcnt 0x0
	global_store_b64 v[16:17], v[0:1], off scope:SCOPE_SYS
	s_and_b32 m0, s20, 0xffffff
	s_sendmsg sendmsg(MSG_INTERRUPT)
.LBB1_422:                              ;   in Loop: Header=BB1_357 Depth=2
	s_wait_xcnt 0x0
	s_or_b32 exec_lo, exec_lo, s1
	v_mov_b32_e32 v37, v1
	s_delay_alu instid0(VALU_DEP_1)
	v_add_nc_u64_e32 v[14:15], v[32:33], v[36:37]
	s_branch .LBB1_426
.LBB1_423:                              ;   in Loop: Header=BB1_426 Depth=3
	s_wait_xcnt 0x0
	s_or_b32 exec_lo, exec_lo, s1
	s_delay_alu instid0(VALU_DEP_1)
	v_readfirstlane_b32 s1, v0
	s_cmp_eq_u32 s1, 0
	s_cbranch_scc1 .LBB1_425
; %bb.424:                              ;   in Loop: Header=BB1_426 Depth=3
	s_sleep 1
	s_cbranch_execnz .LBB1_426
	s_branch .LBB1_428
.LBB1_425:                              ;   in Loop: Header=BB1_357 Depth=2
	s_branch .LBB1_428
.LBB1_426:                              ;   Parent Loop BB1_249 Depth=1
                                        ;     Parent Loop BB1_357 Depth=2
                                        ; =>    This Inner Loop Header: Depth=3
	v_mov_b32_e32 v0, 1
	s_and_saveexec_b32 s1, s0
	s_cbranch_execz .LBB1_423
; %bb.427:                              ;   in Loop: Header=BB1_426 Depth=3
	global_load_b32 v0, v[40:41], off offset:20 scope:SCOPE_SYS
	s_wait_loadcnt 0x0
	global_inv scope:SCOPE_SYS
	v_and_b32_e32 v0, 1, v0
	s_branch .LBB1_423
.LBB1_428:                              ;   in Loop: Header=BB1_357 Depth=2
	global_load_b128 v[14:17], v[14:15], off
	s_wait_xcnt 0x0
	s_and_saveexec_b32 s20, s0
	s_cbranch_execz .LBB1_356
; %bb.429:                              ;   in Loop: Header=BB1_357 Depth=2
	s_wait_loadcnt 0x0
	s_clause 0x2
	global_load_b64 v[16:17], v1, s[2:3] offset:40
	global_load_b64 v[24:25], v1, s[2:3] offset:24 scope:SCOPE_SYS
	global_load_b64 v[18:19], v1, s[2:3]
	s_wait_loadcnt 0x2
	v_readfirstlane_b32 s26, v16
	v_readfirstlane_b32 s27, v17
	s_add_nc_u64 s[0:1], s[26:27], 1
	s_delay_alu instid0(SALU_CYCLE_1) | instskip(NEXT) | instid1(SALU_CYCLE_1)
	s_add_nc_u64 s[18:19], s[0:1], s[18:19]
	s_cmp_eq_u64 s[18:19], 0
	s_cselect_b32 s1, s1, s19
	s_cselect_b32 s0, s0, s18
	s_delay_alu instid0(SALU_CYCLE_1) | instskip(SKIP_1) | instid1(SALU_CYCLE_1)
	v_dual_mov_b32 v23, s1 :: v_dual_mov_b32 v22, s0
	s_and_b64 s[18:19], s[0:1], s[26:27]
	s_mul_u64 s[18:19], s[18:19], 24
	s_wait_loadcnt 0x0
	v_add_nc_u64_e32 v[20:21], s[18:19], v[18:19]
	global_store_b64 v[20:21], v[24:25], off
	global_wb scope:SCOPE_SYS
	s_wait_storecnt 0x0
	s_wait_xcnt 0x0
	global_atomic_cmpswap_b64 v[18:19], v1, v[22:25], s[2:3] offset:24 th:TH_ATOMIC_RETURN scope:SCOPE_SYS
	s_wait_loadcnt 0x0
	v_cmp_ne_u64_e32 vcc_lo, v[18:19], v[24:25]
	s_and_b32 exec_lo, exec_lo, vcc_lo
	s_cbranch_execz .LBB1_356
; %bb.430:                              ;   in Loop: Header=BB1_357 Depth=2
	s_mov_b32 s18, 0
.LBB1_431:                              ;   Parent Loop BB1_249 Depth=1
                                        ;     Parent Loop BB1_357 Depth=2
                                        ; =>    This Inner Loop Header: Depth=3
	v_dual_mov_b32 v16, s0 :: v_dual_mov_b32 v17, s1
	s_sleep 1
	global_store_b64 v[20:21], v[18:19], off
	global_wb scope:SCOPE_SYS
	s_wait_storecnt 0x0
	s_wait_xcnt 0x0
	global_atomic_cmpswap_b64 v[16:17], v1, v[16:19], s[2:3] offset:24 th:TH_ATOMIC_RETURN scope:SCOPE_SYS
	s_wait_loadcnt 0x0
	v_cmp_eq_u64_e32 vcc_lo, v[16:17], v[18:19]
	v_mov_b64_e32 v[18:19], v[16:17]
	s_or_b32 s18, vcc_lo, s18
	s_delay_alu instid0(SALU_CYCLE_1)
	s_and_not1_b32 exec_lo, exec_lo, s18
	s_cbranch_execnz .LBB1_431
	s_branch .LBB1_356
.LBB1_432:                              ;   in Loop: Header=BB1_249 Depth=1
	s_branch .LBB1_248
.LBB1_433:                              ;   in Loop: Header=BB1_249 Depth=1
                                        ; implicit-def: $vgpr12_vgpr13
	s_cbranch_execz .LBB1_354
; %bb.434:                              ;   in Loop: Header=BB1_249 Depth=1
	v_readfirstlane_b32 s0, v34
	v_mov_b64_e32 v[18:19], 0
	s_delay_alu instid0(VALU_DEP_2)
	v_cmp_eq_u32_e64 s0, s0, v34
	s_and_saveexec_b32 s1, s0
	s_cbranch_execz .LBB1_440
; %bb.435:                              ;   in Loop: Header=BB1_249 Depth=1
	global_load_b64 v[14:15], v1, s[2:3] offset:24 scope:SCOPE_SYS
	s_wait_loadcnt 0x0
	global_inv scope:SCOPE_SYS
	s_clause 0x1
	global_load_b64 v[12:13], v1, s[2:3] offset:40
	global_load_b64 v[18:19], v1, s[2:3]
	s_mov_b32 s12, exec_lo
	s_wait_loadcnt 0x1
	v_and_b32_e32 v12, v12, v14
	v_and_b32_e32 v13, v13, v15
	s_delay_alu instid0(VALU_DEP_1) | instskip(SKIP_1) | instid1(VALU_DEP_1)
	v_mul_u64_e32 v[12:13], 24, v[12:13]
	s_wait_loadcnt 0x0
	v_add_nc_u64_e32 v[12:13], v[18:19], v[12:13]
	global_load_b64 v[12:13], v[12:13], off scope:SCOPE_SYS
	s_wait_xcnt 0x0
	s_wait_loadcnt 0x0
	global_atomic_cmpswap_b64 v[18:19], v1, v[12:15], s[2:3] offset:24 th:TH_ATOMIC_RETURN scope:SCOPE_SYS
	s_wait_loadcnt 0x0
	global_inv scope:SCOPE_SYS
	s_wait_xcnt 0x0
	v_cmpx_ne_u64_e64 v[18:19], v[14:15]
	s_cbranch_execz .LBB1_439
; %bb.436:                              ;   in Loop: Header=BB1_249 Depth=1
	s_mov_b32 s13, 0
.LBB1_437:                              ;   Parent Loop BB1_249 Depth=1
                                        ; =>  This Inner Loop Header: Depth=2
	s_sleep 1
	s_clause 0x1
	global_load_b64 v[12:13], v1, s[2:3] offset:40
	global_load_b64 v[20:21], v1, s[2:3]
	v_mov_b64_e32 v[14:15], v[18:19]
	s_wait_loadcnt 0x1
	s_delay_alu instid0(VALU_DEP_1) | instskip(SKIP_1) | instid1(VALU_DEP_1)
	v_and_b32_e32 v0, v12, v14
	s_wait_loadcnt 0x0
	v_mad_nc_u64_u32 v[18:19], v0, 24, v[20:21]
	s_delay_alu instid0(VALU_DEP_3) | instskip(NEXT) | instid1(VALU_DEP_1)
	v_and_b32_e32 v0, v13, v15
	v_mad_u32 v19, v0, 24, v19
	global_load_b64 v[12:13], v[18:19], off scope:SCOPE_SYS
	s_wait_xcnt 0x0
	s_wait_loadcnt 0x0
	global_atomic_cmpswap_b64 v[18:19], v1, v[12:15], s[2:3] offset:24 th:TH_ATOMIC_RETURN scope:SCOPE_SYS
	s_wait_loadcnt 0x0
	global_inv scope:SCOPE_SYS
	v_cmp_eq_u64_e32 vcc_lo, v[18:19], v[14:15]
	s_or_b32 s13, vcc_lo, s13
	s_wait_xcnt 0x0
	s_and_not1_b32 exec_lo, exec_lo, s13
	s_cbranch_execnz .LBB1_437
; %bb.438:                              ;   in Loop: Header=BB1_249 Depth=1
	s_or_b32 exec_lo, exec_lo, s13
.LBB1_439:                              ;   in Loop: Header=BB1_249 Depth=1
	s_delay_alu instid0(SALU_CYCLE_1)
	s_or_b32 exec_lo, exec_lo, s12
.LBB1_440:                              ;   in Loop: Header=BB1_249 Depth=1
	s_delay_alu instid0(SALU_CYCLE_1)
	s_or_b32 exec_lo, exec_lo, s1
	global_load_b64 v[20:21], v1, s[2:3] offset:40
	s_wait_loadcnt 0x1
	global_load_b128 v[12:15], v1, s[2:3]
	v_readfirstlane_b32 s12, v18
	v_readfirstlane_b32 s13, v19
	s_mov_b32 s1, exec_lo
	s_wait_loadcnt 0x1
	v_and_b32_e32 v18, s12, v20
	v_and_b32_e32 v19, s13, v21
	s_delay_alu instid0(VALU_DEP_1) | instskip(SKIP_1) | instid1(VALU_DEP_1)
	v_mul_u64_e32 v[20:21], 24, v[18:19]
	s_wait_loadcnt 0x0
	v_add_nc_u64_e32 v[20:21], v[12:13], v[20:21]
	s_wait_xcnt 0x0
	s_and_saveexec_b32 s14, s0
	s_cbranch_execz .LBB1_442
; %bb.441:                              ;   in Loop: Header=BB1_249 Depth=1
	v_mov_b32_e32 v0, s1
	global_store_b128 v[20:21], v[0:3], off offset:8
.LBB1_442:                              ;   in Loop: Header=BB1_249 Depth=1
	s_wait_xcnt 0x0
	s_or_b32 exec_lo, exec_lo, s14
	v_lshlrev_b64_e32 v[18:19], 12, v[18:19]
	v_mov_b64_e32 v[26:27], s[6:7]
	v_mov_b64_e32 v[24:25], s[4:5]
	v_and_or_b32 v16, 0xffffff1f, v16, 32
	s_delay_alu instid0(VALU_DEP_4) | instskip(SKIP_1) | instid1(VALU_DEP_2)
	v_add_nc_u64_e32 v[22:23], v[14:15], v[18:19]
	v_dual_mov_b32 v18, v1 :: v_dual_mov_b32 v19, v1
	v_readfirstlane_b32 s14, v22
	s_delay_alu instid0(VALU_DEP_3)
	v_readfirstlane_b32 s15, v23
	s_clause 0x3
	global_store_b128 v36, v[16:19], s[14:15]
	global_store_b128 v36, v[24:27], s[14:15] offset:16
	global_store_b128 v36, v[24:27], s[14:15] offset:32
	global_store_b128 v36, v[24:27], s[14:15] offset:48
	s_wait_xcnt 0x0
	s_and_saveexec_b32 s1, s0
	s_cbranch_execz .LBB1_450
; %bb.443:                              ;   in Loop: Header=BB1_249 Depth=1
	s_clause 0x1
	global_load_b64 v[26:27], v1, s[2:3] offset:32 scope:SCOPE_SYS
	global_load_b64 v[14:15], v1, s[2:3] offset:40
	s_mov_b32 s14, exec_lo
	v_dual_mov_b32 v24, s12 :: v_dual_mov_b32 v25, s13
	s_wait_loadcnt 0x0
	v_and_b32_e32 v15, s13, v15
	v_and_b32_e32 v14, s12, v14
	s_delay_alu instid0(VALU_DEP_1) | instskip(NEXT) | instid1(VALU_DEP_1)
	v_mul_u64_e32 v[14:15], 24, v[14:15]
	v_add_nc_u64_e32 v[16:17], v[12:13], v[14:15]
	global_store_b64 v[16:17], v[26:27], off
	global_wb scope:SCOPE_SYS
	s_wait_storecnt 0x0
	s_wait_xcnt 0x0
	global_atomic_cmpswap_b64 v[14:15], v1, v[24:27], s[2:3] offset:32 th:TH_ATOMIC_RETURN scope:SCOPE_SYS
	s_wait_loadcnt 0x0
	v_cmpx_ne_u64_e64 v[14:15], v[26:27]
	s_cbranch_execz .LBB1_446
; %bb.444:                              ;   in Loop: Header=BB1_249 Depth=1
	s_mov_b32 s15, 0
.LBB1_445:                              ;   Parent Loop BB1_249 Depth=1
                                        ; =>  This Inner Loop Header: Depth=2
	v_dual_mov_b32 v12, s12 :: v_dual_mov_b32 v13, s13
	s_sleep 1
	global_store_b64 v[16:17], v[14:15], off
	global_wb scope:SCOPE_SYS
	s_wait_storecnt 0x0
	s_wait_xcnt 0x0
	global_atomic_cmpswap_b64 v[12:13], v1, v[12:15], s[2:3] offset:32 th:TH_ATOMIC_RETURN scope:SCOPE_SYS
	s_wait_loadcnt 0x0
	v_cmp_eq_u64_e32 vcc_lo, v[12:13], v[14:15]
	v_mov_b64_e32 v[14:15], v[12:13]
	s_or_b32 s15, vcc_lo, s15
	s_delay_alu instid0(SALU_CYCLE_1)
	s_and_not1_b32 exec_lo, exec_lo, s15
	s_cbranch_execnz .LBB1_445
.LBB1_446:                              ;   in Loop: Header=BB1_249 Depth=1
	s_or_b32 exec_lo, exec_lo, s14
	global_load_b64 v[12:13], v1, s[2:3] offset:16
	s_mov_b32 s15, exec_lo
	s_mov_b32 s14, exec_lo
	v_mbcnt_lo_u32_b32 v0, s15, 0
	s_wait_xcnt 0x0
	s_delay_alu instid0(VALU_DEP_1)
	v_cmpx_eq_u32_e32 0, v0
	s_cbranch_execz .LBB1_448
; %bb.447:                              ;   in Loop: Header=BB1_249 Depth=1
	s_bcnt1_i32_b32 s15, s15
	s_delay_alu instid0(SALU_CYCLE_1)
	v_mov_b32_e32 v0, s15
	global_wb scope:SCOPE_SYS
	s_wait_loadcnt 0x0
	s_wait_storecnt 0x0
	global_atomic_add_u64 v[12:13], v[0:1], off offset:8 scope:SCOPE_SYS
.LBB1_448:                              ;   in Loop: Header=BB1_249 Depth=1
	s_wait_xcnt 0x0
	s_or_b32 exec_lo, exec_lo, s14
	s_wait_loadcnt 0x0
	global_load_b64 v[14:15], v[12:13], off offset:16
	s_wait_loadcnt 0x0
	v_cmp_eq_u64_e32 vcc_lo, 0, v[14:15]
	s_cbranch_vccnz .LBB1_450
; %bb.449:                              ;   in Loop: Header=BB1_249 Depth=1
	global_load_b32 v0, v[12:13], off offset:24
	s_wait_loadcnt 0x0
	v_readfirstlane_b32 s14, v0
	global_wb scope:SCOPE_SYS
	s_wait_storecnt 0x0
	s_wait_xcnt 0x0
	global_store_b64 v[14:15], v[0:1], off scope:SCOPE_SYS
	s_and_b32 m0, s14, 0xffffff
	s_sendmsg sendmsg(MSG_INTERRUPT)
.LBB1_450:                              ;   in Loop: Header=BB1_249 Depth=1
	s_wait_xcnt 0x0
	s_or_b32 exec_lo, exec_lo, s1
	v_mov_b32_e32 v37, v1
	s_delay_alu instid0(VALU_DEP_1)
	v_add_nc_u64_e32 v[12:13], v[22:23], v[36:37]
	s_branch .LBB1_454
.LBB1_451:                              ;   in Loop: Header=BB1_454 Depth=2
	s_wait_xcnt 0x0
	s_or_b32 exec_lo, exec_lo, s1
	s_delay_alu instid0(VALU_DEP_1)
	v_readfirstlane_b32 s1, v0
	s_cmp_eq_u32 s1, 0
	s_cbranch_scc1 .LBB1_453
; %bb.452:                              ;   in Loop: Header=BB1_454 Depth=2
	s_sleep 1
	s_cbranch_execnz .LBB1_454
	s_branch .LBB1_456
.LBB1_453:                              ;   in Loop: Header=BB1_249 Depth=1
	s_branch .LBB1_456
.LBB1_454:                              ;   Parent Loop BB1_249 Depth=1
                                        ; =>  This Inner Loop Header: Depth=2
	v_mov_b32_e32 v0, 1
	s_and_saveexec_b32 s1, s0
	s_cbranch_execz .LBB1_451
; %bb.455:                              ;   in Loop: Header=BB1_454 Depth=2
	global_load_b32 v0, v[20:21], off offset:20 scope:SCOPE_SYS
	s_wait_loadcnt 0x0
	global_inv scope:SCOPE_SYS
	v_and_b32_e32 v0, 1, v0
	s_branch .LBB1_451
.LBB1_456:                              ;   in Loop: Header=BB1_249 Depth=1
	global_load_b64 v[12:13], v[12:13], off
	s_wait_xcnt 0x0
	s_and_saveexec_b32 s14, s0
	s_cbranch_execz .LBB1_460
; %bb.457:                              ;   in Loop: Header=BB1_249 Depth=1
	s_clause 0x2
	global_load_b64 v[14:15], v1, s[2:3] offset:40
	global_load_b64 v[22:23], v1, s[2:3] offset:24 scope:SCOPE_SYS
	global_load_b64 v[16:17], v1, s[2:3]
	s_wait_loadcnt 0x2
	v_readfirstlane_b32 s16, v14
	v_readfirstlane_b32 s17, v15
	s_add_nc_u64 s[0:1], s[16:17], 1
	s_delay_alu instid0(SALU_CYCLE_1) | instskip(NEXT) | instid1(SALU_CYCLE_1)
	s_add_nc_u64 s[12:13], s[0:1], s[12:13]
	s_cmp_eq_u64 s[12:13], 0
	s_cselect_b32 s1, s1, s13
	s_cselect_b32 s0, s0, s12
	s_delay_alu instid0(SALU_CYCLE_1) | instskip(SKIP_1) | instid1(SALU_CYCLE_1)
	v_dual_mov_b32 v21, s1 :: v_dual_mov_b32 v20, s0
	s_and_b64 s[12:13], s[0:1], s[16:17]
	s_mul_u64 s[12:13], s[12:13], 24
	s_wait_loadcnt 0x0
	v_add_nc_u64_e32 v[18:19], s[12:13], v[16:17]
	global_store_b64 v[18:19], v[22:23], off
	global_wb scope:SCOPE_SYS
	s_wait_storecnt 0x0
	s_wait_xcnt 0x0
	global_atomic_cmpswap_b64 v[16:17], v1, v[20:23], s[2:3] offset:24 th:TH_ATOMIC_RETURN scope:SCOPE_SYS
	s_wait_loadcnt 0x0
	v_cmp_ne_u64_e32 vcc_lo, v[16:17], v[22:23]
	s_and_b32 exec_lo, exec_lo, vcc_lo
	s_cbranch_execz .LBB1_460
; %bb.458:                              ;   in Loop: Header=BB1_249 Depth=1
	s_mov_b32 s12, 0
.LBB1_459:                              ;   Parent Loop BB1_249 Depth=1
                                        ; =>  This Inner Loop Header: Depth=2
	v_dual_mov_b32 v14, s0 :: v_dual_mov_b32 v15, s1
	s_sleep 1
	global_store_b64 v[18:19], v[16:17], off
	global_wb scope:SCOPE_SYS
	s_wait_storecnt 0x0
	s_wait_xcnt 0x0
	global_atomic_cmpswap_b64 v[14:15], v1, v[14:17], s[2:3] offset:24 th:TH_ATOMIC_RETURN scope:SCOPE_SYS
	s_wait_loadcnt 0x0
	v_cmp_eq_u64_e32 vcc_lo, v[14:15], v[16:17]
	v_mov_b64_e32 v[16:17], v[14:15]
	s_or_b32 s12, vcc_lo, s12
	s_delay_alu instid0(SALU_CYCLE_1)
	s_and_not1_b32 exec_lo, exec_lo, s12
	s_cbranch_execnz .LBB1_459
.LBB1_460:                              ;   in Loop: Header=BB1_249 Depth=1
	s_or_b32 exec_lo, exec_lo, s14
	s_delay_alu instid0(SALU_CYCLE_1)
	s_and_b32 vcc_lo, exec_lo, s23
	s_cbranch_vccnz .LBB1_355
.LBB1_461:                              ;   in Loop: Header=BB1_249 Depth=1
	s_cbranch_execz .LBB1_248
; %bb.462:                              ;   in Loop: Header=BB1_249 Depth=1
	v_readfirstlane_b32 s0, v34
	s_wait_loadcnt 0x0
	v_mov_b64_e32 v[14:15], 0
	s_delay_alu instid0(VALU_DEP_2)
	v_cmp_eq_u32_e64 s0, s0, v34
	s_and_saveexec_b32 s1, s0
	s_cbranch_execz .LBB1_468
; %bb.463:                              ;   in Loop: Header=BB1_249 Depth=1
	global_load_b64 v[16:17], v1, s[2:3] offset:24 scope:SCOPE_SYS
	s_wait_loadcnt 0x0
	global_inv scope:SCOPE_SYS
	s_clause 0x1
	global_load_b64 v[14:15], v1, s[2:3] offset:40
	global_load_b64 v[18:19], v1, s[2:3]
	s_mov_b32 s12, exec_lo
	s_wait_loadcnt 0x1
	v_and_b32_e32 v14, v14, v16
	v_and_b32_e32 v15, v15, v17
	s_delay_alu instid0(VALU_DEP_1) | instskip(SKIP_1) | instid1(VALU_DEP_1)
	v_mul_u64_e32 v[14:15], 24, v[14:15]
	s_wait_loadcnt 0x0
	v_add_nc_u64_e32 v[14:15], v[18:19], v[14:15]
	global_load_b64 v[14:15], v[14:15], off scope:SCOPE_SYS
	s_wait_xcnt 0x0
	s_wait_loadcnt 0x0
	global_atomic_cmpswap_b64 v[14:15], v1, v[14:17], s[2:3] offset:24 th:TH_ATOMIC_RETURN scope:SCOPE_SYS
	s_wait_loadcnt 0x0
	global_inv scope:SCOPE_SYS
	s_wait_xcnt 0x0
	v_cmpx_ne_u64_e64 v[14:15], v[16:17]
	s_cbranch_execz .LBB1_467
; %bb.464:                              ;   in Loop: Header=BB1_249 Depth=1
	s_mov_b32 s13, 0
.LBB1_465:                              ;   Parent Loop BB1_249 Depth=1
                                        ; =>  This Inner Loop Header: Depth=2
	s_sleep 1
	s_clause 0x1
	global_load_b64 v[18:19], v1, s[2:3] offset:40
	global_load_b64 v[20:21], v1, s[2:3]
	v_mov_b64_e32 v[16:17], v[14:15]
	s_wait_loadcnt 0x1
	s_delay_alu instid0(VALU_DEP_1) | instskip(SKIP_1) | instid1(VALU_DEP_1)
	v_and_b32_e32 v0, v18, v16
	s_wait_loadcnt 0x0
	v_mad_nc_u64_u32 v[14:15], v0, 24, v[20:21]
	s_delay_alu instid0(VALU_DEP_3) | instskip(NEXT) | instid1(VALU_DEP_1)
	v_and_b32_e32 v0, v19, v17
	v_mad_u32 v15, v0, 24, v15
	global_load_b64 v[14:15], v[14:15], off scope:SCOPE_SYS
	s_wait_xcnt 0x0
	s_wait_loadcnt 0x0
	global_atomic_cmpswap_b64 v[14:15], v1, v[14:17], s[2:3] offset:24 th:TH_ATOMIC_RETURN scope:SCOPE_SYS
	s_wait_loadcnt 0x0
	global_inv scope:SCOPE_SYS
	v_cmp_eq_u64_e32 vcc_lo, v[14:15], v[16:17]
	s_or_b32 s13, vcc_lo, s13
	s_wait_xcnt 0x0
	s_and_not1_b32 exec_lo, exec_lo, s13
	s_cbranch_execnz .LBB1_465
; %bb.466:                              ;   in Loop: Header=BB1_249 Depth=1
	s_or_b32 exec_lo, exec_lo, s13
.LBB1_467:                              ;   in Loop: Header=BB1_249 Depth=1
	s_delay_alu instid0(SALU_CYCLE_1)
	s_or_b32 exec_lo, exec_lo, s12
.LBB1_468:                              ;   in Loop: Header=BB1_249 Depth=1
	s_delay_alu instid0(SALU_CYCLE_1)
	s_or_b32 exec_lo, exec_lo, s1
	s_clause 0x1
	global_load_b64 v[20:21], v1, s[2:3] offset:40
	global_load_b128 v[16:19], v1, s[2:3]
	v_readfirstlane_b32 s12, v14
	v_readfirstlane_b32 s13, v15
	s_mov_b32 s1, exec_lo
	s_wait_loadcnt 0x1
	v_and_b32_e32 v14, s12, v20
	v_and_b32_e32 v15, s13, v21
	s_delay_alu instid0(VALU_DEP_1) | instskip(SKIP_1) | instid1(VALU_DEP_1)
	v_mul_u64_e32 v[20:21], 24, v[14:15]
	s_wait_loadcnt 0x0
	v_add_nc_u64_e32 v[20:21], v[16:17], v[20:21]
	s_wait_xcnt 0x0
	s_and_saveexec_b32 s14, s0
	s_cbranch_execz .LBB1_470
; %bb.469:                              ;   in Loop: Header=BB1_249 Depth=1
	v_mov_b32_e32 v0, s1
	global_store_b128 v[20:21], v[0:3], off offset:8
.LBB1_470:                              ;   in Loop: Header=BB1_249 Depth=1
	s_wait_xcnt 0x0
	s_or_b32 exec_lo, exec_lo, s14
	v_lshlrev_b64_e32 v[14:15], 12, v[14:15]
	v_mov_b64_e32 v[24:25], s[6:7]
	v_mov_b64_e32 v[22:23], s[4:5]
	v_and_or_b32 v12, 0xffffff1d, v12, 34
	s_delay_alu instid0(VALU_DEP_4) | instskip(SKIP_1) | instid1(VALU_DEP_2)
	v_add_nc_u64_e32 v[18:19], v[18:19], v[14:15]
	v_dual_mov_b32 v14, v1 :: v_dual_mov_b32 v15, v1
	v_readfirstlane_b32 s14, v18
	s_delay_alu instid0(VALU_DEP_3)
	v_readfirstlane_b32 s15, v19
	s_clause 0x3
	global_store_b128 v36, v[12:15], s[14:15]
	global_store_b128 v36, v[22:25], s[14:15] offset:16
	global_store_b128 v36, v[22:25], s[14:15] offset:32
	;; [unrolled: 1-line block ×3, first 2 shown]
	s_wait_xcnt 0x0
	s_and_saveexec_b32 s1, s0
	s_cbranch_execz .LBB1_478
; %bb.471:                              ;   in Loop: Header=BB1_249 Depth=1
	s_clause 0x1
	global_load_b64 v[24:25], v1, s[2:3] offset:32 scope:SCOPE_SYS
	global_load_b64 v[12:13], v1, s[2:3] offset:40
	s_mov_b32 s14, exec_lo
	v_dual_mov_b32 v22, s12 :: v_dual_mov_b32 v23, s13
	s_wait_loadcnt 0x0
	v_and_b32_e32 v13, s13, v13
	v_and_b32_e32 v12, s12, v12
	s_delay_alu instid0(VALU_DEP_1) | instskip(NEXT) | instid1(VALU_DEP_1)
	v_mul_u64_e32 v[12:13], 24, v[12:13]
	v_add_nc_u64_e32 v[16:17], v[16:17], v[12:13]
	global_store_b64 v[16:17], v[24:25], off
	global_wb scope:SCOPE_SYS
	s_wait_storecnt 0x0
	s_wait_xcnt 0x0
	global_atomic_cmpswap_b64 v[14:15], v1, v[22:25], s[2:3] offset:32 th:TH_ATOMIC_RETURN scope:SCOPE_SYS
	s_wait_loadcnt 0x0
	v_cmpx_ne_u64_e64 v[14:15], v[24:25]
	s_cbranch_execz .LBB1_474
; %bb.472:                              ;   in Loop: Header=BB1_249 Depth=1
	s_mov_b32 s15, 0
.LBB1_473:                              ;   Parent Loop BB1_249 Depth=1
                                        ; =>  This Inner Loop Header: Depth=2
	v_dual_mov_b32 v12, s12 :: v_dual_mov_b32 v13, s13
	s_sleep 1
	global_store_b64 v[16:17], v[14:15], off
	global_wb scope:SCOPE_SYS
	s_wait_storecnt 0x0
	s_wait_xcnt 0x0
	global_atomic_cmpswap_b64 v[12:13], v1, v[12:15], s[2:3] offset:32 th:TH_ATOMIC_RETURN scope:SCOPE_SYS
	s_wait_loadcnt 0x0
	v_cmp_eq_u64_e32 vcc_lo, v[12:13], v[14:15]
	v_mov_b64_e32 v[14:15], v[12:13]
	s_or_b32 s15, vcc_lo, s15
	s_delay_alu instid0(SALU_CYCLE_1)
	s_and_not1_b32 exec_lo, exec_lo, s15
	s_cbranch_execnz .LBB1_473
.LBB1_474:                              ;   in Loop: Header=BB1_249 Depth=1
	s_or_b32 exec_lo, exec_lo, s14
	global_load_b64 v[12:13], v1, s[2:3] offset:16
	s_mov_b32 s15, exec_lo
	s_mov_b32 s14, exec_lo
	v_mbcnt_lo_u32_b32 v0, s15, 0
	s_wait_xcnt 0x0
	s_delay_alu instid0(VALU_DEP_1)
	v_cmpx_eq_u32_e32 0, v0
	s_cbranch_execz .LBB1_476
; %bb.475:                              ;   in Loop: Header=BB1_249 Depth=1
	s_bcnt1_i32_b32 s15, s15
	s_delay_alu instid0(SALU_CYCLE_1)
	v_mov_b32_e32 v0, s15
	global_wb scope:SCOPE_SYS
	s_wait_loadcnt 0x0
	s_wait_storecnt 0x0
	global_atomic_add_u64 v[12:13], v[0:1], off offset:8 scope:SCOPE_SYS
.LBB1_476:                              ;   in Loop: Header=BB1_249 Depth=1
	s_wait_xcnt 0x0
	s_or_b32 exec_lo, exec_lo, s14
	s_wait_loadcnt 0x0
	global_load_b64 v[14:15], v[12:13], off offset:16
	s_wait_loadcnt 0x0
	v_cmp_eq_u64_e32 vcc_lo, 0, v[14:15]
	s_cbranch_vccnz .LBB1_478
; %bb.477:                              ;   in Loop: Header=BB1_249 Depth=1
	global_load_b32 v0, v[12:13], off offset:24
	s_wait_loadcnt 0x0
	v_readfirstlane_b32 s14, v0
	global_wb scope:SCOPE_SYS
	s_wait_storecnt 0x0
	s_wait_xcnt 0x0
	global_store_b64 v[14:15], v[0:1], off scope:SCOPE_SYS
	s_and_b32 m0, s14, 0xffffff
	s_sendmsg sendmsg(MSG_INTERRUPT)
.LBB1_478:                              ;   in Loop: Header=BB1_249 Depth=1
	s_wait_xcnt 0x0
	s_or_b32 exec_lo, exec_lo, s1
	s_branch .LBB1_482
.LBB1_479:                              ;   in Loop: Header=BB1_482 Depth=2
	s_wait_xcnt 0x0
	s_or_b32 exec_lo, exec_lo, s1
	s_delay_alu instid0(VALU_DEP_1)
	v_readfirstlane_b32 s1, v0
	s_cmp_eq_u32 s1, 0
	s_cbranch_scc1 .LBB1_481
; %bb.480:                              ;   in Loop: Header=BB1_482 Depth=2
	s_sleep 1
	s_cbranch_execnz .LBB1_482
	s_branch .LBB1_484
.LBB1_481:                              ;   in Loop: Header=BB1_249 Depth=1
	s_branch .LBB1_484
.LBB1_482:                              ;   Parent Loop BB1_249 Depth=1
                                        ; =>  This Inner Loop Header: Depth=2
	v_mov_b32_e32 v0, 1
	s_and_saveexec_b32 s1, s0
	s_cbranch_execz .LBB1_479
; %bb.483:                              ;   in Loop: Header=BB1_482 Depth=2
	global_load_b32 v0, v[20:21], off offset:20 scope:SCOPE_SYS
	s_wait_loadcnt 0x0
	global_inv scope:SCOPE_SYS
	v_and_b32_e32 v0, 1, v0
	s_branch .LBB1_479
.LBB1_484:                              ;   in Loop: Header=BB1_249 Depth=1
	s_and_saveexec_b32 s14, s0
	s_cbranch_execz .LBB1_247
; %bb.485:                              ;   in Loop: Header=BB1_249 Depth=1
	s_clause 0x2
	global_load_b64 v[12:13], v1, s[2:3] offset:40
	global_load_b64 v[20:21], v1, s[2:3] offset:24 scope:SCOPE_SYS
	global_load_b64 v[14:15], v1, s[2:3]
	s_wait_loadcnt 0x2
	v_readfirstlane_b32 s16, v12
	v_readfirstlane_b32 s17, v13
	s_add_nc_u64 s[0:1], s[16:17], 1
	s_delay_alu instid0(SALU_CYCLE_1) | instskip(NEXT) | instid1(SALU_CYCLE_1)
	s_add_nc_u64 s[12:13], s[0:1], s[12:13]
	s_cmp_eq_u64 s[12:13], 0
	s_cselect_b32 s1, s1, s13
	s_cselect_b32 s0, s0, s12
	s_delay_alu instid0(SALU_CYCLE_1) | instskip(SKIP_1) | instid1(SALU_CYCLE_1)
	v_dual_mov_b32 v19, s1 :: v_dual_mov_b32 v18, s0
	s_and_b64 s[12:13], s[0:1], s[16:17]
	s_mul_u64 s[12:13], s[12:13], 24
	s_wait_loadcnt 0x0
	v_add_nc_u64_e32 v[16:17], s[12:13], v[14:15]
	global_store_b64 v[16:17], v[20:21], off
	global_wb scope:SCOPE_SYS
	s_wait_storecnt 0x0
	s_wait_xcnt 0x0
	global_atomic_cmpswap_b64 v[14:15], v1, v[18:21], s[2:3] offset:24 th:TH_ATOMIC_RETURN scope:SCOPE_SYS
	s_wait_loadcnt 0x0
	v_cmp_ne_u64_e32 vcc_lo, v[14:15], v[20:21]
	s_and_b32 exec_lo, exec_lo, vcc_lo
	s_cbranch_execz .LBB1_247
; %bb.486:                              ;   in Loop: Header=BB1_249 Depth=1
	s_mov_b32 s12, 0
.LBB1_487:                              ;   Parent Loop BB1_249 Depth=1
                                        ; =>  This Inner Loop Header: Depth=2
	v_dual_mov_b32 v12, s0 :: v_dual_mov_b32 v13, s1
	s_sleep 1
	global_store_b64 v[16:17], v[14:15], off
	global_wb scope:SCOPE_SYS
	s_wait_storecnt 0x0
	s_wait_xcnt 0x0
	global_atomic_cmpswap_b64 v[12:13], v1, v[12:15], s[2:3] offset:24 th:TH_ATOMIC_RETURN scope:SCOPE_SYS
	s_wait_loadcnt 0x0
	v_cmp_eq_u64_e32 vcc_lo, v[12:13], v[14:15]
	v_mov_b64_e32 v[14:15], v[12:13]
	s_or_b32 s12, vcc_lo, s12
	s_delay_alu instid0(SALU_CYCLE_1)
	s_and_not1_b32 exec_lo, exec_lo, s12
	s_cbranch_execnz .LBB1_487
	s_branch .LBB1_247
.LBB1_488:
	s_endpgm
	.section	.rodata,"a",@progbits
	.p2align	6, 0x0
	.amdhsa_kernel _ZN19hipPrintfStressTest32kernel_printf_two_conditionalstrEj
		.amdhsa_group_segment_fixed_size 0
		.amdhsa_private_segment_fixed_size 0
		.amdhsa_kernarg_size 264
		.amdhsa_user_sgpr_count 2
		.amdhsa_user_sgpr_dispatch_ptr 0
		.amdhsa_user_sgpr_queue_ptr 0
		.amdhsa_user_sgpr_kernarg_segment_ptr 1
		.amdhsa_user_sgpr_dispatch_id 0
		.amdhsa_user_sgpr_kernarg_preload_length 0
		.amdhsa_user_sgpr_kernarg_preload_offset 0
		.amdhsa_user_sgpr_private_segment_size 0
		.amdhsa_wavefront_size32 1
		.amdhsa_uses_dynamic_stack 0
		.amdhsa_enable_private_segment 0
		.amdhsa_system_sgpr_workgroup_id_x 1
		.amdhsa_system_sgpr_workgroup_id_y 0
		.amdhsa_system_sgpr_workgroup_id_z 0
		.amdhsa_system_sgpr_workgroup_info 0
		.amdhsa_system_vgpr_workitem_id 0
		.amdhsa_next_free_vgpr 46
		.amdhsa_next_free_sgpr 36
		.amdhsa_named_barrier_count 0
		.amdhsa_reserve_vcc 1
		.amdhsa_float_round_mode_32 0
		.amdhsa_float_round_mode_16_64 0
		.amdhsa_float_denorm_mode_32 3
		.amdhsa_float_denorm_mode_16_64 3
		.amdhsa_fp16_overflow 0
		.amdhsa_memory_ordered 1
		.amdhsa_forward_progress 1
		.amdhsa_inst_pref_size 146
		.amdhsa_round_robin_scheduling 0
		.amdhsa_exception_fp_ieee_invalid_op 0
		.amdhsa_exception_fp_denorm_src 0
		.amdhsa_exception_fp_ieee_div_zero 0
		.amdhsa_exception_fp_ieee_overflow 0
		.amdhsa_exception_fp_ieee_underflow 0
		.amdhsa_exception_fp_ieee_inexact 0
		.amdhsa_exception_int_div_zero 0
	.end_amdhsa_kernel
	.text
.Lfunc_end1:
	.size	_ZN19hipPrintfStressTest32kernel_printf_two_conditionalstrEj, .Lfunc_end1-_ZN19hipPrintfStressTest32kernel_printf_two_conditionalstrEj
                                        ; -- End function
	.set _ZN19hipPrintfStressTest32kernel_printf_two_conditionalstrEj.num_vgpr, 46
	.set _ZN19hipPrintfStressTest32kernel_printf_two_conditionalstrEj.num_agpr, 0
	.set _ZN19hipPrintfStressTest32kernel_printf_two_conditionalstrEj.numbered_sgpr, 36
	.set _ZN19hipPrintfStressTest32kernel_printf_two_conditionalstrEj.num_named_barrier, 0
	.set _ZN19hipPrintfStressTest32kernel_printf_two_conditionalstrEj.private_seg_size, 0
	.set _ZN19hipPrintfStressTest32kernel_printf_two_conditionalstrEj.uses_vcc, 1
	.set _ZN19hipPrintfStressTest32kernel_printf_two_conditionalstrEj.uses_flat_scratch, 0
	.set _ZN19hipPrintfStressTest32kernel_printf_two_conditionalstrEj.has_dyn_sized_stack, 0
	.set _ZN19hipPrintfStressTest32kernel_printf_two_conditionalstrEj.has_recursion, 0
	.set _ZN19hipPrintfStressTest32kernel_printf_two_conditionalstrEj.has_indirect_call, 0
	.section	.AMDGPU.csdata,"",@progbits
; Kernel info:
; codeLenInByte = 18616
; TotalNumSgprs: 38
; NumVgprs: 46
; ScratchSize: 0
; MemoryBound: 0
; FloatMode: 240
; IeeeMode: 1
; LDSByteSize: 0 bytes/workgroup (compile time only)
; SGPRBlocks: 0
; VGPRBlocks: 2
; NumSGPRsForWavesPerEU: 38
; NumVGPRsForWavesPerEU: 46
; NamedBarCnt: 0
; Occupancy: 16
; WaveLimiterHint : 1
; COMPUTE_PGM_RSRC2:SCRATCH_EN: 0
; COMPUTE_PGM_RSRC2:USER_SGPR: 2
; COMPUTE_PGM_RSRC2:TRAP_HANDLER: 0
; COMPUTE_PGM_RSRC2:TGID_X_EN: 1
; COMPUTE_PGM_RSRC2:TGID_Y_EN: 0
; COMPUTE_PGM_RSRC2:TGID_Z_EN: 0
; COMPUTE_PGM_RSRC2:TIDIG_COMP_CNT: 0
	.text
	.protected	_ZN19hipPrintfStressTest35kernel_printf_single_conditionalstrEj ; -- Begin function _ZN19hipPrintfStressTest35kernel_printf_single_conditionalstrEj
	.globl	_ZN19hipPrintfStressTest35kernel_printf_single_conditionalstrEj
	.p2align	8
	.type	_ZN19hipPrintfStressTest35kernel_printf_single_conditionalstrEj,@function
_ZN19hipPrintfStressTest35kernel_printf_single_conditionalstrEj: ; @_ZN19hipPrintfStressTest35kernel_printf_single_conditionalstrEj
; %bb.0:
	s_clause 0x1
	s_load_b32 s2, s[0:1], 0x14
	s_load_b32 s22, s[0:1], 0x0
	s_bfe_u32 s3, ttmp6, 0x4000c
	s_getreg_b32 s4, hwreg(HW_REG_IB_STS2, 6, 4)
	s_add_co_i32 s3, s3, 1
	s_delay_alu instid0(SALU_CYCLE_1) | instskip(NEXT) | instid1(SALU_CYCLE_1)
	s_mul_i32 s3, ttmp9, s3
	s_add_co_i32 s3, ttmp6, s3
	s_cmp_eq_u32 s4, 0
	s_mov_b32 s4, 0
	s_cselect_b32 s3, ttmp9, s3
	s_wait_kmcnt 0x0
	v_mad_u32 v0, s3, s2, v0
	s_cmp_lg_u32 s22, 0
	s_cselect_b32 s2, -1, 0
	s_delay_alu instid0(VALU_DEP_1) | instskip(NEXT) | instid1(VALU_DEP_1)
	v_and_b32_e32 v0, 1, v0
	v_cmp_eq_u32_e32 vcc_lo, 0, v0
	s_and_b32 s2, vcc_lo, s2
	s_delay_alu instid0(SALU_CYCLE_1)
	s_and_saveexec_b32 s3, s2
	s_cbranch_execz .LBB2_243
; %bb.1:
	s_add_nc_u64 s[0:1], s[0:1], 8
	v_mbcnt_lo_u32_b32 v34, -1, 0
	s_load_b64 s[8:9], s[0:1], 0x50
	v_mov_b32_e32 v1, 0
	s_mov_b32 s6, s4
	s_mov_b32 s7, s4
	v_lshlrev_b32_e32 v36, 6, v34
	s_mov_b32 s5, s4
	s_get_pc_i64 s[2:3]
	s_add_nc_u64 s[2:3], s[2:3], .str@rel64+4
	v_mov_b64_e32 v[10:11], s[6:7]
	v_mov_b64_e32 v[2:3], 0x100000002
	;; [unrolled: 1-line block ×3, first 2 shown]
	s_get_pc_i64 s[10:11]
	s_add_nc_u64 s[10:11], s[10:11], .str.2@rel64+4
	s_cmp_lg_u64 s[2:3], 0
	v_dual_mov_b32 v38, v36 :: v_dual_mov_b32 v39, v1
	v_dual_mov_b32 v4, 33 :: v_dual_mov_b32 v5, v1
	;; [unrolled: 1-line block ×3, first 2 shown]
	s_cselect_b32 s23, -1, 0
	s_cmp_lg_u64 s[10:11], 0
	s_mov_b32 s25, s4
	s_cselect_b32 s24, -1, 0
	s_branch .LBB2_4
.LBB2_2:                                ;   in Loop: Header=BB2_4 Depth=1
	s_or_b32 exec_lo, exec_lo, s14
.LBB2_3:                                ;   in Loop: Header=BB2_4 Depth=1
	s_add_co_i32 s25, s25, 1
	s_delay_alu instid0(SALU_CYCLE_1)
	s_cmp_lg_u32 s25, s22
	s_cbranch_scc0 .LBB2_243
.LBB2_4:                                ; =>This Loop Header: Depth=1
                                        ;     Child Loop BB2_7 Depth 2
                                        ;     Child Loop BB2_15 Depth 2
	;; [unrolled: 1-line block ×9, first 2 shown]
                                        ;       Child Loop BB2_36 Depth 3
                                        ;       Child Loop BB2_43 Depth 3
	;; [unrolled: 1-line block ×11, first 2 shown]
                                        ;     Child Loop BB2_220 Depth 2
                                        ;     Child Loop BB2_228 Depth 2
	;; [unrolled: 1-line block ×5, first 2 shown]
                                        ;       Child Loop BB2_115 Depth 3
                                        ;       Child Loop BB2_122 Depth 3
	;; [unrolled: 1-line block ×11, first 2 shown]
	s_wait_xcnt 0x0
	v_readfirstlane_b32 s0, v34
	s_wait_loadcnt 0x0
	v_mov_b64_e32 v[16:17], 0
	s_delay_alu instid0(VALU_DEP_2)
	v_cmp_eq_u32_e64 s0, s0, v34
	s_and_saveexec_b32 s1, s0
	s_cbranch_execz .LBB2_10
; %bb.5:                                ;   in Loop: Header=BB2_4 Depth=1
	s_wait_kmcnt 0x0
	global_load_b64 v[14:15], v1, s[8:9] offset:24 scope:SCOPE_SYS
	s_wait_loadcnt 0x0
	global_inv scope:SCOPE_SYS
	s_clause 0x1
	global_load_b64 v[12:13], v1, s[8:9] offset:40
	global_load_b64 v[16:17], v1, s[8:9]
	s_mov_b32 s12, exec_lo
	s_wait_loadcnt 0x1
	v_and_b32_e32 v12, v12, v14
	v_and_b32_e32 v13, v13, v15
	s_delay_alu instid0(VALU_DEP_1) | instskip(SKIP_1) | instid1(VALU_DEP_1)
	v_mul_u64_e32 v[12:13], 24, v[12:13]
	s_wait_loadcnt 0x0
	v_add_nc_u64_e32 v[12:13], v[16:17], v[12:13]
	global_load_b64 v[12:13], v[12:13], off scope:SCOPE_SYS
	s_wait_xcnt 0x0
	s_wait_loadcnt 0x0
	global_atomic_cmpswap_b64 v[16:17], v1, v[12:15], s[8:9] offset:24 th:TH_ATOMIC_RETURN scope:SCOPE_SYS
	s_wait_loadcnt 0x0
	global_inv scope:SCOPE_SYS
	s_wait_xcnt 0x0
	v_cmpx_ne_u64_e64 v[16:17], v[14:15]
	s_cbranch_execz .LBB2_9
; %bb.6:                                ;   in Loop: Header=BB2_4 Depth=1
	s_mov_b32 s13, 0
.LBB2_7:                                ;   Parent Loop BB2_4 Depth=1
                                        ; =>  This Inner Loop Header: Depth=2
	s_sleep 1
	s_clause 0x1
	global_load_b64 v[12:13], v1, s[8:9] offset:40
	global_load_b64 v[18:19], v1, s[8:9]
	v_mov_b64_e32 v[14:15], v[16:17]
	s_wait_loadcnt 0x1
	s_delay_alu instid0(VALU_DEP_1) | instskip(SKIP_1) | instid1(VALU_DEP_1)
	v_and_b32_e32 v0, v12, v14
	s_wait_loadcnt 0x0
	v_mad_nc_u64_u32 v[16:17], v0, 24, v[18:19]
	s_delay_alu instid0(VALU_DEP_3) | instskip(NEXT) | instid1(VALU_DEP_1)
	v_and_b32_e32 v0, v13, v15
	v_mad_u32 v17, v0, 24, v17
	global_load_b64 v[12:13], v[16:17], off scope:SCOPE_SYS
	s_wait_xcnt 0x0
	s_wait_loadcnt 0x0
	global_atomic_cmpswap_b64 v[16:17], v1, v[12:15], s[8:9] offset:24 th:TH_ATOMIC_RETURN scope:SCOPE_SYS
	s_wait_loadcnt 0x0
	global_inv scope:SCOPE_SYS
	v_cmp_eq_u64_e32 vcc_lo, v[16:17], v[14:15]
	s_or_b32 s13, vcc_lo, s13
	s_wait_xcnt 0x0
	s_and_not1_b32 exec_lo, exec_lo, s13
	s_cbranch_execnz .LBB2_7
; %bb.8:                                ;   in Loop: Header=BB2_4 Depth=1
	s_or_b32 exec_lo, exec_lo, s13
.LBB2_9:                                ;   in Loop: Header=BB2_4 Depth=1
	s_delay_alu instid0(SALU_CYCLE_1)
	s_or_b32 exec_lo, exec_lo, s12
.LBB2_10:                               ;   in Loop: Header=BB2_4 Depth=1
	s_delay_alu instid0(SALU_CYCLE_1)
	s_or_b32 exec_lo, exec_lo, s1
	s_wait_kmcnt 0x0
	s_clause 0x1
	global_load_b64 v[18:19], v1, s[8:9] offset:40
	global_load_b128 v[12:15], v1, s[8:9]
	v_readfirstlane_b32 s12, v16
	v_readfirstlane_b32 s13, v17
	s_mov_b32 s1, exec_lo
	s_wait_loadcnt 0x1
	v_and_b32_e32 v18, s12, v18
	v_and_b32_e32 v19, s13, v19
	s_delay_alu instid0(VALU_DEP_1) | instskip(SKIP_1) | instid1(VALU_DEP_1)
	v_mul_u64_e32 v[16:17], 24, v[18:19]
	s_wait_loadcnt 0x0
	v_add_nc_u64_e32 v[16:17], v[12:13], v[16:17]
	s_wait_xcnt 0x0
	s_and_saveexec_b32 s14, s0
	s_cbranch_execz .LBB2_12
; %bb.11:                               ;   in Loop: Header=BB2_4 Depth=1
	v_mov_b32_e32 v0, s1
	global_store_b128 v[16:17], v[0:3], off offset:8
.LBB2_12:                               ;   in Loop: Header=BB2_4 Depth=1
	s_wait_xcnt 0x0
	s_or_b32 exec_lo, exec_lo, s14
	v_lshlrev_b64_e32 v[18:19], 12, v[18:19]
	s_delay_alu instid0(VALU_DEP_1) | instskip(NEXT) | instid1(VALU_DEP_1)
	v_add_nc_u64_e32 v[18:19], v[14:15], v[18:19]
	v_readfirstlane_b32 s14, v18
	s_delay_alu instid0(VALU_DEP_2)
	v_readfirstlane_b32 s15, v19
	s_clause 0x3
	global_store_b128 v36, v[4:7], s[14:15]
	global_store_b128 v36, v[8:11], s[14:15] offset:16
	global_store_b128 v36, v[8:11], s[14:15] offset:32
	;; [unrolled: 1-line block ×3, first 2 shown]
	s_wait_xcnt 0x0
	s_and_saveexec_b32 s1, s0
	s_cbranch_execz .LBB2_20
; %bb.13:                               ;   in Loop: Header=BB2_4 Depth=1
	s_clause 0x1
	global_load_b64 v[24:25], v1, s[8:9] offset:32 scope:SCOPE_SYS
	global_load_b64 v[14:15], v1, s[8:9] offset:40
	s_mov_b32 s14, exec_lo
	v_dual_mov_b32 v22, s12 :: v_dual_mov_b32 v23, s13
	s_wait_loadcnt 0x0
	v_and_b32_e32 v15, s13, v15
	v_and_b32_e32 v14, s12, v14
	s_delay_alu instid0(VALU_DEP_1) | instskip(NEXT) | instid1(VALU_DEP_1)
	v_mul_u64_e32 v[14:15], 24, v[14:15]
	v_add_nc_u64_e32 v[20:21], v[12:13], v[14:15]
	global_store_b64 v[20:21], v[24:25], off
	global_wb scope:SCOPE_SYS
	s_wait_storecnt 0x0
	s_wait_xcnt 0x0
	global_atomic_cmpswap_b64 v[14:15], v1, v[22:25], s[8:9] offset:32 th:TH_ATOMIC_RETURN scope:SCOPE_SYS
	s_wait_loadcnt 0x0
	v_cmpx_ne_u64_e64 v[14:15], v[24:25]
	s_cbranch_execz .LBB2_16
; %bb.14:                               ;   in Loop: Header=BB2_4 Depth=1
	s_mov_b32 s15, 0
.LBB2_15:                               ;   Parent Loop BB2_4 Depth=1
                                        ; =>  This Inner Loop Header: Depth=2
	v_dual_mov_b32 v12, s12 :: v_dual_mov_b32 v13, s13
	s_sleep 1
	global_store_b64 v[20:21], v[14:15], off
	global_wb scope:SCOPE_SYS
	s_wait_storecnt 0x0
	s_wait_xcnt 0x0
	global_atomic_cmpswap_b64 v[12:13], v1, v[12:15], s[8:9] offset:32 th:TH_ATOMIC_RETURN scope:SCOPE_SYS
	s_wait_loadcnt 0x0
	v_cmp_eq_u64_e32 vcc_lo, v[12:13], v[14:15]
	v_mov_b64_e32 v[14:15], v[12:13]
	s_or_b32 s15, vcc_lo, s15
	s_delay_alu instid0(SALU_CYCLE_1)
	s_and_not1_b32 exec_lo, exec_lo, s15
	s_cbranch_execnz .LBB2_15
.LBB2_16:                               ;   in Loop: Header=BB2_4 Depth=1
	s_or_b32 exec_lo, exec_lo, s14
	global_load_b64 v[12:13], v1, s[8:9] offset:16
	s_mov_b32 s15, exec_lo
	s_mov_b32 s14, exec_lo
	v_mbcnt_lo_u32_b32 v0, s15, 0
	s_wait_xcnt 0x0
	s_delay_alu instid0(VALU_DEP_1)
	v_cmpx_eq_u32_e32 0, v0
	s_cbranch_execz .LBB2_18
; %bb.17:                               ;   in Loop: Header=BB2_4 Depth=1
	s_bcnt1_i32_b32 s15, s15
	s_delay_alu instid0(SALU_CYCLE_1)
	v_mov_b32_e32 v0, s15
	global_wb scope:SCOPE_SYS
	s_wait_loadcnt 0x0
	s_wait_storecnt 0x0
	global_atomic_add_u64 v[12:13], v[0:1], off offset:8 scope:SCOPE_SYS
.LBB2_18:                               ;   in Loop: Header=BB2_4 Depth=1
	s_wait_xcnt 0x0
	s_or_b32 exec_lo, exec_lo, s14
	s_wait_loadcnt 0x0
	global_load_b64 v[14:15], v[12:13], off offset:16
	s_wait_loadcnt 0x0
	v_cmp_eq_u64_e32 vcc_lo, 0, v[14:15]
	s_cbranch_vccnz .LBB2_20
; %bb.19:                               ;   in Loop: Header=BB2_4 Depth=1
	global_load_b32 v0, v[12:13], off offset:24
	s_wait_loadcnt 0x0
	v_readfirstlane_b32 s14, v0
	global_wb scope:SCOPE_SYS
	s_wait_storecnt 0x0
	s_wait_xcnt 0x0
	global_store_b64 v[14:15], v[0:1], off scope:SCOPE_SYS
	s_and_b32 m0, s14, 0xffffff
	s_sendmsg sendmsg(MSG_INTERRUPT)
.LBB2_20:                               ;   in Loop: Header=BB2_4 Depth=1
	s_wait_xcnt 0x0
	s_or_b32 exec_lo, exec_lo, s1
	v_add_nc_u64_e32 v[12:13], v[18:19], v[38:39]
	s_branch .LBB2_24
.LBB2_21:                               ;   in Loop: Header=BB2_24 Depth=2
	s_wait_xcnt 0x0
	s_or_b32 exec_lo, exec_lo, s1
	s_delay_alu instid0(VALU_DEP_1)
	v_readfirstlane_b32 s1, v0
	s_cmp_eq_u32 s1, 0
	s_cbranch_scc1 .LBB2_23
; %bb.22:                               ;   in Loop: Header=BB2_24 Depth=2
	s_sleep 1
	s_cbranch_execnz .LBB2_24
	s_branch .LBB2_26
.LBB2_23:                               ;   in Loop: Header=BB2_4 Depth=1
	s_branch .LBB2_26
.LBB2_24:                               ;   Parent Loop BB2_4 Depth=1
                                        ; =>  This Inner Loop Header: Depth=2
	v_mov_b32_e32 v0, 1
	s_and_saveexec_b32 s1, s0
	s_cbranch_execz .LBB2_21
; %bb.25:                               ;   in Loop: Header=BB2_24 Depth=2
	global_load_b32 v0, v[16:17], off offset:20 scope:SCOPE_SYS
	s_wait_loadcnt 0x0
	global_inv scope:SCOPE_SYS
	v_and_b32_e32 v0, 1, v0
	s_branch .LBB2_21
.LBB2_26:                               ;   in Loop: Header=BB2_4 Depth=1
	global_load_b64 v[16:17], v[12:13], off
	s_wait_xcnt 0x0
	s_and_saveexec_b32 s14, s0
	s_cbranch_execz .LBB2_30
; %bb.27:                               ;   in Loop: Header=BB2_4 Depth=1
	s_clause 0x2
	global_load_b64 v[12:13], v1, s[8:9] offset:40
	global_load_b64 v[22:23], v1, s[8:9] offset:24 scope:SCOPE_SYS
	global_load_b64 v[14:15], v1, s[8:9]
	s_wait_loadcnt 0x2
	v_readfirstlane_b32 s16, v12
	v_readfirstlane_b32 s17, v13
	s_add_nc_u64 s[0:1], s[16:17], 1
	s_delay_alu instid0(SALU_CYCLE_1) | instskip(NEXT) | instid1(SALU_CYCLE_1)
	s_add_nc_u64 s[12:13], s[0:1], s[12:13]
	s_cmp_eq_u64 s[12:13], 0
	s_cselect_b32 s1, s1, s13
	s_cselect_b32 s0, s0, s12
	s_delay_alu instid0(SALU_CYCLE_1) | instskip(SKIP_1) | instid1(SALU_CYCLE_1)
	v_dual_mov_b32 v21, s1 :: v_dual_mov_b32 v20, s0
	s_and_b64 s[12:13], s[0:1], s[16:17]
	s_mul_u64 s[12:13], s[12:13], 24
	s_wait_loadcnt 0x0
	v_add_nc_u64_e32 v[18:19], s[12:13], v[14:15]
	global_store_b64 v[18:19], v[22:23], off
	global_wb scope:SCOPE_SYS
	s_wait_storecnt 0x0
	s_wait_xcnt 0x0
	global_atomic_cmpswap_b64 v[14:15], v1, v[20:23], s[8:9] offset:24 th:TH_ATOMIC_RETURN scope:SCOPE_SYS
	s_wait_loadcnt 0x0
	v_cmp_ne_u64_e32 vcc_lo, v[14:15], v[22:23]
	s_and_b32 exec_lo, exec_lo, vcc_lo
	s_cbranch_execz .LBB2_30
; %bb.28:                               ;   in Loop: Header=BB2_4 Depth=1
	s_mov_b32 s12, 0
.LBB2_29:                               ;   Parent Loop BB2_4 Depth=1
                                        ; =>  This Inner Loop Header: Depth=2
	v_dual_mov_b32 v12, s0 :: v_dual_mov_b32 v13, s1
	s_sleep 1
	global_store_b64 v[18:19], v[14:15], off
	global_wb scope:SCOPE_SYS
	s_wait_storecnt 0x0
	s_wait_xcnt 0x0
	global_atomic_cmpswap_b64 v[12:13], v1, v[12:15], s[8:9] offset:24 th:TH_ATOMIC_RETURN scope:SCOPE_SYS
	s_wait_loadcnt 0x0
	v_cmp_eq_u64_e32 vcc_lo, v[12:13], v[14:15]
	v_mov_b64_e32 v[14:15], v[12:13]
	s_or_b32 s12, vcc_lo, s12
	s_delay_alu instid0(SALU_CYCLE_1)
	s_and_not1_b32 exec_lo, exec_lo, s12
	s_cbranch_execnz .LBB2_29
.LBB2_30:                               ;   in Loop: Header=BB2_4 Depth=1
	s_or_b32 exec_lo, exec_lo, s14
	s_delay_alu instid0(SALU_CYCLE_1)
	s_and_b32 vcc_lo, exec_lo, s23
	s_cbranch_vccz .LBB2_188
; %bb.31:                               ;   in Loop: Header=BB2_4 Depth=1
	s_wait_loadcnt 0x0
	v_dual_mov_b32 v13, v17 :: v_dual_bitop2_b32 v40, 2, v16 bitop3:0x40
	v_and_b32_e32 v12, -3, v16
	s_mov_b64 s[12:13], 3
	s_mov_b64 s[14:15], s[2:3]
	s_branch .LBB2_33
.LBB2_32:                               ;   in Loop: Header=BB2_33 Depth=2
	s_or_b32 exec_lo, exec_lo, s20
	s_sub_nc_u64 s[12:13], s[12:13], s[16:17]
	s_add_nc_u64 s[14:15], s[14:15], s[16:17]
	s_cmp_lg_u64 s[12:13], 0
	s_cbranch_scc0 .LBB2_108
.LBB2_33:                               ;   Parent Loop BB2_4 Depth=1
                                        ; =>  This Loop Header: Depth=2
                                        ;       Child Loop BB2_36 Depth 3
                                        ;       Child Loop BB2_43 Depth 3
	;; [unrolled: 1-line block ×11, first 2 shown]
	v_min_u64 v[14:15], s[12:13], 56
	v_cmp_gt_u64_e64 s0, s[12:13], 7
	s_and_b32 vcc_lo, exec_lo, s0
	v_readfirstlane_b32 s16, v14
	v_readfirstlane_b32 s17, v15
	s_cbranch_vccnz .LBB2_38
; %bb.34:                               ;   in Loop: Header=BB2_33 Depth=2
	v_mov_b64_e32 v[14:15], 0
	s_cmp_eq_u64 s[12:13], 0
	s_cbranch_scc1 .LBB2_37
; %bb.35:                               ;   in Loop: Header=BB2_33 Depth=2
	s_mov_b64 s[0:1], 0
	s_mov_b64 s[18:19], 0
.LBB2_36:                               ;   Parent Loop BB2_4 Depth=1
                                        ;     Parent Loop BB2_33 Depth=2
                                        ; =>    This Inner Loop Header: Depth=3
	s_wait_xcnt 0x0
	s_add_nc_u64 s[20:21], s[14:15], s[18:19]
	s_add_nc_u64 s[18:19], s[18:19], 1
	global_load_u8 v0, v1, s[20:21]
	s_cmp_lg_u32 s16, s18
	s_wait_loadcnt 0x0
	v_and_b32_e32 v0, 0xffff, v0
	s_delay_alu instid0(VALU_DEP_1) | instskip(SKIP_1) | instid1(VALU_DEP_1)
	v_lshlrev_b64_e32 v[18:19], s0, v[0:1]
	s_add_nc_u64 s[0:1], s[0:1], 8
	v_or_b32_e32 v14, v18, v14
	s_delay_alu instid0(VALU_DEP_2)
	v_or_b32_e32 v15, v19, v15
	s_cbranch_scc1 .LBB2_36
.LBB2_37:                               ;   in Loop: Header=BB2_33 Depth=2
	s_mov_b64 s[0:1], s[14:15]
	s_mov_b32 s26, 0
	s_cbranch_execz .LBB2_39
	s_branch .LBB2_40
.LBB2_38:                               ;   in Loop: Header=BB2_33 Depth=2
	s_add_nc_u64 s[0:1], s[14:15], 8
	s_mov_b32 s26, 0
.LBB2_39:                               ;   in Loop: Header=BB2_33 Depth=2
	global_load_b64 v[14:15], v1, s[14:15]
	s_add_co_i32 s26, s16, -8
.LBB2_40:                               ;   in Loop: Header=BB2_33 Depth=2
	s_delay_alu instid0(SALU_CYCLE_1)
	s_cmp_gt_u32 s26, 7
	s_cbranch_scc1 .LBB2_45
; %bb.41:                               ;   in Loop: Header=BB2_33 Depth=2
	v_mov_b64_e32 v[18:19], 0
	s_cmp_eq_u32 s26, 0
	s_cbranch_scc1 .LBB2_44
; %bb.42:                               ;   in Loop: Header=BB2_33 Depth=2
	s_mov_b64 s[18:19], 0
	s_wait_xcnt 0x0
	s_mov_b64 s[20:21], 0
.LBB2_43:                               ;   Parent Loop BB2_4 Depth=1
                                        ;     Parent Loop BB2_33 Depth=2
                                        ; =>    This Inner Loop Header: Depth=3
	s_wait_xcnt 0x0
	s_add_nc_u64 s[28:29], s[0:1], s[20:21]
	s_add_nc_u64 s[20:21], s[20:21], 1
	global_load_u8 v0, v1, s[28:29]
	s_cmp_lg_u32 s26, s20
	s_wait_loadcnt 0x0
	v_and_b32_e32 v0, 0xffff, v0
	s_delay_alu instid0(VALU_DEP_1) | instskip(SKIP_1) | instid1(VALU_DEP_1)
	v_lshlrev_b64_e32 v[20:21], s18, v[0:1]
	s_add_nc_u64 s[18:19], s[18:19], 8
	v_or_b32_e32 v18, v20, v18
	s_delay_alu instid0(VALU_DEP_2)
	v_or_b32_e32 v19, v21, v19
	s_cbranch_scc1 .LBB2_43
.LBB2_44:                               ;   in Loop: Header=BB2_33 Depth=2
	s_wait_xcnt 0x0
	s_mov_b64 s[18:19], s[0:1]
	s_mov_b32 s27, 0
	s_cbranch_execz .LBB2_46
	s_branch .LBB2_47
.LBB2_45:                               ;   in Loop: Header=BB2_33 Depth=2
	s_add_nc_u64 s[18:19], s[0:1], 8
	s_wait_xcnt 0x0
                                        ; implicit-def: $vgpr18_vgpr19
	s_mov_b32 s27, 0
.LBB2_46:                               ;   in Loop: Header=BB2_33 Depth=2
	global_load_b64 v[18:19], v1, s[0:1]
	s_add_co_i32 s27, s26, -8
.LBB2_47:                               ;   in Loop: Header=BB2_33 Depth=2
	s_delay_alu instid0(SALU_CYCLE_1)
	s_cmp_gt_u32 s27, 7
	s_cbranch_scc1 .LBB2_52
; %bb.48:                               ;   in Loop: Header=BB2_33 Depth=2
	v_mov_b64_e32 v[20:21], 0
	s_cmp_eq_u32 s27, 0
	s_cbranch_scc1 .LBB2_51
; %bb.49:                               ;   in Loop: Header=BB2_33 Depth=2
	s_wait_xcnt 0x0
	s_mov_b64 s[0:1], 0
	s_mov_b64 s[20:21], 0
.LBB2_50:                               ;   Parent Loop BB2_4 Depth=1
                                        ;     Parent Loop BB2_33 Depth=2
                                        ; =>    This Inner Loop Header: Depth=3
	s_wait_xcnt 0x0
	s_add_nc_u64 s[28:29], s[18:19], s[20:21]
	s_add_nc_u64 s[20:21], s[20:21], 1
	global_load_u8 v0, v1, s[28:29]
	s_cmp_lg_u32 s27, s20
	s_wait_loadcnt 0x0
	v_and_b32_e32 v0, 0xffff, v0
	s_delay_alu instid0(VALU_DEP_1) | instskip(SKIP_1) | instid1(VALU_DEP_1)
	v_lshlrev_b64_e32 v[22:23], s0, v[0:1]
	s_add_nc_u64 s[0:1], s[0:1], 8
	v_or_b32_e32 v20, v22, v20
	s_delay_alu instid0(VALU_DEP_2)
	v_or_b32_e32 v21, v23, v21
	s_cbranch_scc1 .LBB2_50
.LBB2_51:                               ;   in Loop: Header=BB2_33 Depth=2
	s_wait_xcnt 0x0
	s_mov_b64 s[0:1], s[18:19]
	s_mov_b32 s26, 0
	s_cbranch_execz .LBB2_53
	s_branch .LBB2_54
.LBB2_52:                               ;   in Loop: Header=BB2_33 Depth=2
	s_wait_xcnt 0x0
	s_add_nc_u64 s[0:1], s[18:19], 8
	s_mov_b32 s26, 0
.LBB2_53:                               ;   in Loop: Header=BB2_33 Depth=2
	global_load_b64 v[20:21], v1, s[18:19]
	s_add_co_i32 s26, s27, -8
.LBB2_54:                               ;   in Loop: Header=BB2_33 Depth=2
	s_delay_alu instid0(SALU_CYCLE_1)
	s_cmp_gt_u32 s26, 7
	s_cbranch_scc1 .LBB2_59
; %bb.55:                               ;   in Loop: Header=BB2_33 Depth=2
	v_mov_b64_e32 v[22:23], 0
	s_cmp_eq_u32 s26, 0
	s_cbranch_scc1 .LBB2_58
; %bb.56:                               ;   in Loop: Header=BB2_33 Depth=2
	s_wait_xcnt 0x0
	s_mov_b64 s[18:19], 0
	s_mov_b64 s[20:21], 0
.LBB2_57:                               ;   Parent Loop BB2_4 Depth=1
                                        ;     Parent Loop BB2_33 Depth=2
                                        ; =>    This Inner Loop Header: Depth=3
	s_wait_xcnt 0x0
	s_add_nc_u64 s[28:29], s[0:1], s[20:21]
	s_add_nc_u64 s[20:21], s[20:21], 1
	global_load_u8 v0, v1, s[28:29]
	s_cmp_lg_u32 s26, s20
	s_wait_loadcnt 0x0
	v_and_b32_e32 v0, 0xffff, v0
	s_delay_alu instid0(VALU_DEP_1) | instskip(SKIP_1) | instid1(VALU_DEP_1)
	v_lshlrev_b64_e32 v[24:25], s18, v[0:1]
	s_add_nc_u64 s[18:19], s[18:19], 8
	v_or_b32_e32 v22, v24, v22
	s_delay_alu instid0(VALU_DEP_2)
	v_or_b32_e32 v23, v25, v23
	s_cbranch_scc1 .LBB2_57
.LBB2_58:                               ;   in Loop: Header=BB2_33 Depth=2
	s_wait_xcnt 0x0
	s_mov_b64 s[18:19], s[0:1]
	s_mov_b32 s27, 0
	s_cbranch_execz .LBB2_60
	s_branch .LBB2_61
.LBB2_59:                               ;   in Loop: Header=BB2_33 Depth=2
	s_wait_xcnt 0x0
	s_add_nc_u64 s[18:19], s[0:1], 8
                                        ; implicit-def: $vgpr22_vgpr23
	s_mov_b32 s27, 0
.LBB2_60:                               ;   in Loop: Header=BB2_33 Depth=2
	global_load_b64 v[22:23], v1, s[0:1]
	s_add_co_i32 s27, s26, -8
.LBB2_61:                               ;   in Loop: Header=BB2_33 Depth=2
	s_delay_alu instid0(SALU_CYCLE_1)
	s_cmp_gt_u32 s27, 7
	s_cbranch_scc1 .LBB2_66
; %bb.62:                               ;   in Loop: Header=BB2_33 Depth=2
	v_mov_b64_e32 v[24:25], 0
	s_cmp_eq_u32 s27, 0
	s_cbranch_scc1 .LBB2_65
; %bb.63:                               ;   in Loop: Header=BB2_33 Depth=2
	s_wait_xcnt 0x0
	s_mov_b64 s[0:1], 0
	s_mov_b64 s[20:21], 0
.LBB2_64:                               ;   Parent Loop BB2_4 Depth=1
                                        ;     Parent Loop BB2_33 Depth=2
                                        ; =>    This Inner Loop Header: Depth=3
	s_wait_xcnt 0x0
	s_add_nc_u64 s[28:29], s[18:19], s[20:21]
	s_add_nc_u64 s[20:21], s[20:21], 1
	global_load_u8 v0, v1, s[28:29]
	s_cmp_lg_u32 s27, s20
	s_wait_loadcnt 0x0
	v_and_b32_e32 v0, 0xffff, v0
	s_delay_alu instid0(VALU_DEP_1) | instskip(SKIP_1) | instid1(VALU_DEP_1)
	v_lshlrev_b64_e32 v[26:27], s0, v[0:1]
	s_add_nc_u64 s[0:1], s[0:1], 8
	v_or_b32_e32 v24, v26, v24
	s_delay_alu instid0(VALU_DEP_2)
	v_or_b32_e32 v25, v27, v25
	s_cbranch_scc1 .LBB2_64
.LBB2_65:                               ;   in Loop: Header=BB2_33 Depth=2
	s_wait_xcnt 0x0
	s_mov_b64 s[0:1], s[18:19]
	s_mov_b32 s26, 0
	s_cbranch_execz .LBB2_67
	s_branch .LBB2_68
.LBB2_66:                               ;   in Loop: Header=BB2_33 Depth=2
	s_wait_xcnt 0x0
	s_add_nc_u64 s[0:1], s[18:19], 8
	s_mov_b32 s26, 0
.LBB2_67:                               ;   in Loop: Header=BB2_33 Depth=2
	global_load_b64 v[24:25], v1, s[18:19]
	s_add_co_i32 s26, s27, -8
.LBB2_68:                               ;   in Loop: Header=BB2_33 Depth=2
	s_delay_alu instid0(SALU_CYCLE_1)
	s_cmp_gt_u32 s26, 7
	s_cbranch_scc1 .LBB2_73
; %bb.69:                               ;   in Loop: Header=BB2_33 Depth=2
	v_mov_b64_e32 v[26:27], 0
	s_cmp_eq_u32 s26, 0
	s_cbranch_scc1 .LBB2_72
; %bb.70:                               ;   in Loop: Header=BB2_33 Depth=2
	s_wait_xcnt 0x0
	s_mov_b64 s[18:19], 0
	s_mov_b64 s[20:21], 0
.LBB2_71:                               ;   Parent Loop BB2_4 Depth=1
                                        ;     Parent Loop BB2_33 Depth=2
                                        ; =>    This Inner Loop Header: Depth=3
	s_wait_xcnt 0x0
	s_add_nc_u64 s[28:29], s[0:1], s[20:21]
	s_add_nc_u64 s[20:21], s[20:21], 1
	global_load_u8 v0, v1, s[28:29]
	s_cmp_lg_u32 s26, s20
	s_wait_loadcnt 0x0
	v_and_b32_e32 v0, 0xffff, v0
	s_delay_alu instid0(VALU_DEP_1) | instskip(SKIP_1) | instid1(VALU_DEP_1)
	v_lshlrev_b64_e32 v[28:29], s18, v[0:1]
	s_add_nc_u64 s[18:19], s[18:19], 8
	v_or_b32_e32 v26, v28, v26
	s_delay_alu instid0(VALU_DEP_2)
	v_or_b32_e32 v27, v29, v27
	s_cbranch_scc1 .LBB2_71
.LBB2_72:                               ;   in Loop: Header=BB2_33 Depth=2
	s_wait_xcnt 0x0
	s_mov_b64 s[18:19], s[0:1]
	s_mov_b32 s27, 0
	s_cbranch_execz .LBB2_74
	s_branch .LBB2_75
.LBB2_73:                               ;   in Loop: Header=BB2_33 Depth=2
	s_wait_xcnt 0x0
	s_add_nc_u64 s[18:19], s[0:1], 8
                                        ; implicit-def: $vgpr26_vgpr27
	s_mov_b32 s27, 0
.LBB2_74:                               ;   in Loop: Header=BB2_33 Depth=2
	global_load_b64 v[26:27], v1, s[0:1]
	s_add_co_i32 s27, s26, -8
.LBB2_75:                               ;   in Loop: Header=BB2_33 Depth=2
	s_delay_alu instid0(SALU_CYCLE_1)
	s_cmp_gt_u32 s27, 7
	s_cbranch_scc1 .LBB2_80
; %bb.76:                               ;   in Loop: Header=BB2_33 Depth=2
	v_mov_b64_e32 v[28:29], 0
	s_cmp_eq_u32 s27, 0
	s_cbranch_scc1 .LBB2_79
; %bb.77:                               ;   in Loop: Header=BB2_33 Depth=2
	s_wait_xcnt 0x0
	s_mov_b64 s[0:1], 0
	s_mov_b64 s[20:21], s[18:19]
.LBB2_78:                               ;   Parent Loop BB2_4 Depth=1
                                        ;     Parent Loop BB2_33 Depth=2
                                        ; =>    This Inner Loop Header: Depth=3
	global_load_u8 v0, v1, s[20:21]
	s_add_co_i32 s27, s27, -1
	s_wait_xcnt 0x0
	s_add_nc_u64 s[20:21], s[20:21], 1
	s_cmp_lg_u32 s27, 0
	s_wait_loadcnt 0x0
	v_and_b32_e32 v0, 0xffff, v0
	s_delay_alu instid0(VALU_DEP_1) | instskip(SKIP_1) | instid1(VALU_DEP_1)
	v_lshlrev_b64_e32 v[30:31], s0, v[0:1]
	s_add_nc_u64 s[0:1], s[0:1], 8
	v_or_b32_e32 v28, v30, v28
	s_delay_alu instid0(VALU_DEP_2)
	v_or_b32_e32 v29, v31, v29
	s_cbranch_scc1 .LBB2_78
.LBB2_79:                               ;   in Loop: Header=BB2_33 Depth=2
	s_wait_xcnt 0x0
	s_cbranch_execz .LBB2_81
	s_branch .LBB2_82
.LBB2_80:                               ;   in Loop: Header=BB2_33 Depth=2
	s_wait_xcnt 0x0
.LBB2_81:                               ;   in Loop: Header=BB2_33 Depth=2
	global_load_b64 v[28:29], v1, s[18:19]
.LBB2_82:                               ;   in Loop: Header=BB2_33 Depth=2
	v_readfirstlane_b32 s0, v34
	v_mov_b64_e32 v[42:43], 0
	s_delay_alu instid0(VALU_DEP_2)
	v_cmp_eq_u32_e64 s0, s0, v34
	s_wait_xcnt 0x0
	s_and_saveexec_b32 s1, s0
	s_cbranch_execz .LBB2_88
; %bb.83:                               ;   in Loop: Header=BB2_33 Depth=2
	global_load_b64 v[32:33], v1, s[8:9] offset:24 scope:SCOPE_SYS
	s_wait_loadcnt 0x0
	global_inv scope:SCOPE_SYS
	s_clause 0x1
	global_load_b64 v[30:31], v1, s[8:9] offset:40
	global_load_b64 v[42:43], v1, s[8:9]
	s_mov_b32 s18, exec_lo
	s_wait_loadcnt 0x1
	v_and_b32_e32 v30, v30, v32
	v_and_b32_e32 v31, v31, v33
	s_delay_alu instid0(VALU_DEP_1) | instskip(SKIP_1) | instid1(VALU_DEP_1)
	v_mul_u64_e32 v[30:31], 24, v[30:31]
	s_wait_loadcnt 0x0
	v_add_nc_u64_e32 v[30:31], v[42:43], v[30:31]
	global_load_b64 v[30:31], v[30:31], off scope:SCOPE_SYS
	s_wait_xcnt 0x0
	s_wait_loadcnt 0x0
	global_atomic_cmpswap_b64 v[42:43], v1, v[30:33], s[8:9] offset:24 th:TH_ATOMIC_RETURN scope:SCOPE_SYS
	s_wait_loadcnt 0x0
	global_inv scope:SCOPE_SYS
	s_wait_xcnt 0x0
	v_cmpx_ne_u64_e64 v[42:43], v[32:33]
	s_cbranch_execz .LBB2_87
; %bb.84:                               ;   in Loop: Header=BB2_33 Depth=2
	s_mov_b32 s19, 0
.LBB2_85:                               ;   Parent Loop BB2_4 Depth=1
                                        ;     Parent Loop BB2_33 Depth=2
                                        ; =>    This Inner Loop Header: Depth=3
	s_sleep 1
	s_clause 0x1
	global_load_b64 v[30:31], v1, s[8:9] offset:40
	global_load_b64 v[44:45], v1, s[8:9]
	v_mov_b64_e32 v[32:33], v[42:43]
	s_wait_loadcnt 0x1
	s_delay_alu instid0(VALU_DEP_1) | instskip(SKIP_1) | instid1(VALU_DEP_1)
	v_and_b32_e32 v0, v30, v32
	s_wait_loadcnt 0x0
	v_mad_nc_u64_u32 v[42:43], v0, 24, v[44:45]
	s_delay_alu instid0(VALU_DEP_3) | instskip(NEXT) | instid1(VALU_DEP_1)
	v_and_b32_e32 v0, v31, v33
	v_mad_u32 v43, v0, 24, v43
	global_load_b64 v[30:31], v[42:43], off scope:SCOPE_SYS
	s_wait_xcnt 0x0
	s_wait_loadcnt 0x0
	global_atomic_cmpswap_b64 v[42:43], v1, v[30:33], s[8:9] offset:24 th:TH_ATOMIC_RETURN scope:SCOPE_SYS
	s_wait_loadcnt 0x0
	global_inv scope:SCOPE_SYS
	v_cmp_eq_u64_e32 vcc_lo, v[42:43], v[32:33]
	s_or_b32 s19, vcc_lo, s19
	s_wait_xcnt 0x0
	s_and_not1_b32 exec_lo, exec_lo, s19
	s_cbranch_execnz .LBB2_85
; %bb.86:                               ;   in Loop: Header=BB2_33 Depth=2
	s_or_b32 exec_lo, exec_lo, s19
.LBB2_87:                               ;   in Loop: Header=BB2_33 Depth=2
	s_delay_alu instid0(SALU_CYCLE_1)
	s_or_b32 exec_lo, exec_lo, s18
.LBB2_88:                               ;   in Loop: Header=BB2_33 Depth=2
	s_delay_alu instid0(SALU_CYCLE_1)
	s_or_b32 exec_lo, exec_lo, s1
	s_clause 0x1
	global_load_b64 v[44:45], v1, s[8:9] offset:40
	global_load_b128 v[30:33], v1, s[8:9]
	v_readfirstlane_b32 s18, v42
	v_readfirstlane_b32 s19, v43
	s_mov_b32 s1, exec_lo
	s_wait_loadcnt 0x1
	v_and_b32_e32 v44, s18, v44
	v_and_b32_e32 v45, s19, v45
	s_delay_alu instid0(VALU_DEP_1) | instskip(SKIP_1) | instid1(VALU_DEP_1)
	v_mul_u64_e32 v[42:43], 24, v[44:45]
	s_wait_loadcnt 0x0
	v_add_nc_u64_e32 v[42:43], v[30:31], v[42:43]
	s_wait_xcnt 0x0
	s_and_saveexec_b32 s20, s0
	s_cbranch_execz .LBB2_90
; %bb.89:                               ;   in Loop: Header=BB2_33 Depth=2
	v_mov_b32_e32 v0, s1
	global_store_b128 v[42:43], v[0:3], off offset:8
.LBB2_90:                               ;   in Loop: Header=BB2_33 Depth=2
	s_wait_xcnt 0x0
	s_or_b32 exec_lo, exec_lo, s20
	v_cmp_lt_u64_e64 vcc_lo, s[12:13], 57
	v_lshlrev_b64_e32 v[44:45], 12, v[44:45]
	v_and_b32_e32 v12, 0xffffff1f, v12
	s_lshl_b32 s1, s16, 2
	s_delay_alu instid0(SALU_CYCLE_1) | instskip(SKIP_1) | instid1(VALU_DEP_3)
	s_add_co_i32 s1, s1, 28
	v_cndmask_b32_e32 v0, 0, v40, vcc_lo
	v_add_nc_u64_e32 v[32:33], v[32:33], v[44:45]
	s_delay_alu instid0(VALU_DEP_2) | instskip(NEXT) | instid1(VALU_DEP_2)
	v_or_b32_e32 v0, v12, v0
	v_readfirstlane_b32 s20, v32
	s_delay_alu instid0(VALU_DEP_3) | instskip(NEXT) | instid1(VALU_DEP_3)
	v_readfirstlane_b32 s21, v33
	v_and_or_b32 v12, 0x1e0, s1, v0
	s_clause 0x3
	global_store_b128 v36, v[12:15], s[20:21]
	global_store_b128 v36, v[18:21], s[20:21] offset:16
	global_store_b128 v36, v[22:25], s[20:21] offset:32
	global_store_b128 v36, v[26:29], s[20:21] offset:48
	s_wait_xcnt 0x0
	s_and_saveexec_b32 s1, s0
	s_cbranch_execz .LBB2_98
; %bb.91:                               ;   in Loop: Header=BB2_33 Depth=2
	s_clause 0x1
	global_load_b64 v[22:23], v1, s[8:9] offset:32 scope:SCOPE_SYS
	global_load_b64 v[12:13], v1, s[8:9] offset:40
	s_mov_b32 s20, exec_lo
	v_dual_mov_b32 v20, s18 :: v_dual_mov_b32 v21, s19
	s_wait_loadcnt 0x0
	v_and_b32_e32 v13, s19, v13
	v_and_b32_e32 v12, s18, v12
	s_delay_alu instid0(VALU_DEP_1) | instskip(NEXT) | instid1(VALU_DEP_1)
	v_mul_u64_e32 v[12:13], 24, v[12:13]
	v_add_nc_u64_e32 v[18:19], v[30:31], v[12:13]
	global_store_b64 v[18:19], v[22:23], off
	global_wb scope:SCOPE_SYS
	s_wait_storecnt 0x0
	s_wait_xcnt 0x0
	global_atomic_cmpswap_b64 v[14:15], v1, v[20:23], s[8:9] offset:32 th:TH_ATOMIC_RETURN scope:SCOPE_SYS
	s_wait_loadcnt 0x0
	v_cmpx_ne_u64_e64 v[14:15], v[22:23]
	s_cbranch_execz .LBB2_94
; %bb.92:                               ;   in Loop: Header=BB2_33 Depth=2
	s_mov_b32 s21, 0
.LBB2_93:                               ;   Parent Loop BB2_4 Depth=1
                                        ;     Parent Loop BB2_33 Depth=2
                                        ; =>    This Inner Loop Header: Depth=3
	v_dual_mov_b32 v12, s18 :: v_dual_mov_b32 v13, s19
	s_sleep 1
	global_store_b64 v[18:19], v[14:15], off
	global_wb scope:SCOPE_SYS
	s_wait_storecnt 0x0
	s_wait_xcnt 0x0
	global_atomic_cmpswap_b64 v[12:13], v1, v[12:15], s[8:9] offset:32 th:TH_ATOMIC_RETURN scope:SCOPE_SYS
	s_wait_loadcnt 0x0
	v_cmp_eq_u64_e32 vcc_lo, v[12:13], v[14:15]
	v_mov_b64_e32 v[14:15], v[12:13]
	s_or_b32 s21, vcc_lo, s21
	s_delay_alu instid0(SALU_CYCLE_1)
	s_and_not1_b32 exec_lo, exec_lo, s21
	s_cbranch_execnz .LBB2_93
.LBB2_94:                               ;   in Loop: Header=BB2_33 Depth=2
	s_or_b32 exec_lo, exec_lo, s20
	global_load_b64 v[12:13], v1, s[8:9] offset:16
	s_mov_b32 s21, exec_lo
	s_mov_b32 s20, exec_lo
	v_mbcnt_lo_u32_b32 v0, s21, 0
	s_wait_xcnt 0x0
	s_delay_alu instid0(VALU_DEP_1)
	v_cmpx_eq_u32_e32 0, v0
	s_cbranch_execz .LBB2_96
; %bb.95:                               ;   in Loop: Header=BB2_33 Depth=2
	s_bcnt1_i32_b32 s21, s21
	s_delay_alu instid0(SALU_CYCLE_1)
	v_mov_b32_e32 v0, s21
	global_wb scope:SCOPE_SYS
	s_wait_loadcnt 0x0
	s_wait_storecnt 0x0
	global_atomic_add_u64 v[12:13], v[0:1], off offset:8 scope:SCOPE_SYS
.LBB2_96:                               ;   in Loop: Header=BB2_33 Depth=2
	s_wait_xcnt 0x0
	s_or_b32 exec_lo, exec_lo, s20
	s_wait_loadcnt 0x0
	global_load_b64 v[14:15], v[12:13], off offset:16
	s_wait_loadcnt 0x0
	v_cmp_eq_u64_e32 vcc_lo, 0, v[14:15]
	s_cbranch_vccnz .LBB2_98
; %bb.97:                               ;   in Loop: Header=BB2_33 Depth=2
	global_load_b32 v0, v[12:13], off offset:24
	s_wait_loadcnt 0x0
	v_readfirstlane_b32 s20, v0
	global_wb scope:SCOPE_SYS
	s_wait_storecnt 0x0
	s_wait_xcnt 0x0
	global_store_b64 v[14:15], v[0:1], off scope:SCOPE_SYS
	s_and_b32 m0, s20, 0xffffff
	s_sendmsg sendmsg(MSG_INTERRUPT)
.LBB2_98:                               ;   in Loop: Header=BB2_33 Depth=2
	s_wait_xcnt 0x0
	s_or_b32 exec_lo, exec_lo, s1
	v_mov_b32_e32 v37, v1
	s_delay_alu instid0(VALU_DEP_1)
	v_add_nc_u64_e32 v[12:13], v[32:33], v[36:37]
	s_branch .LBB2_102
.LBB2_99:                               ;   in Loop: Header=BB2_102 Depth=3
	s_wait_xcnt 0x0
	s_or_b32 exec_lo, exec_lo, s1
	s_delay_alu instid0(VALU_DEP_1)
	v_readfirstlane_b32 s1, v0
	s_cmp_eq_u32 s1, 0
	s_cbranch_scc1 .LBB2_101
; %bb.100:                              ;   in Loop: Header=BB2_102 Depth=3
	s_sleep 1
	s_cbranch_execnz .LBB2_102
	s_branch .LBB2_104
.LBB2_101:                              ;   in Loop: Header=BB2_33 Depth=2
	s_branch .LBB2_104
.LBB2_102:                              ;   Parent Loop BB2_4 Depth=1
                                        ;     Parent Loop BB2_33 Depth=2
                                        ; =>    This Inner Loop Header: Depth=3
	v_mov_b32_e32 v0, 1
	s_and_saveexec_b32 s1, s0
	s_cbranch_execz .LBB2_99
; %bb.103:                              ;   in Loop: Header=BB2_102 Depth=3
	global_load_b32 v0, v[42:43], off offset:20 scope:SCOPE_SYS
	s_wait_loadcnt 0x0
	global_inv scope:SCOPE_SYS
	v_and_b32_e32 v0, 1, v0
	s_branch .LBB2_99
.LBB2_104:                              ;   in Loop: Header=BB2_33 Depth=2
	global_load_b64 v[12:13], v[12:13], off
	s_wait_xcnt 0x0
	s_and_saveexec_b32 s20, s0
	s_cbranch_execz .LBB2_32
; %bb.105:                              ;   in Loop: Header=BB2_33 Depth=2
	s_clause 0x2
	global_load_b64 v[14:15], v1, s[8:9] offset:40
	global_load_b64 v[22:23], v1, s[8:9] offset:24 scope:SCOPE_SYS
	global_load_b64 v[18:19], v1, s[8:9]
	s_wait_loadcnt 0x2
	v_readfirstlane_b32 s26, v14
	v_readfirstlane_b32 s27, v15
	s_add_nc_u64 s[0:1], s[26:27], 1
	s_delay_alu instid0(SALU_CYCLE_1) | instskip(NEXT) | instid1(SALU_CYCLE_1)
	s_add_nc_u64 s[18:19], s[0:1], s[18:19]
	s_cmp_eq_u64 s[18:19], 0
	s_cselect_b32 s1, s1, s19
	s_cselect_b32 s0, s0, s18
	s_delay_alu instid0(SALU_CYCLE_1) | instskip(SKIP_1) | instid1(SALU_CYCLE_1)
	v_dual_mov_b32 v21, s1 :: v_dual_mov_b32 v20, s0
	s_and_b64 s[18:19], s[0:1], s[26:27]
	s_mul_u64 s[18:19], s[18:19], 24
	s_wait_loadcnt 0x0
	v_add_nc_u64_e32 v[14:15], s[18:19], v[18:19]
	global_store_b64 v[14:15], v[22:23], off
	global_wb scope:SCOPE_SYS
	s_wait_storecnt 0x0
	s_wait_xcnt 0x0
	global_atomic_cmpswap_b64 v[20:21], v1, v[20:23], s[8:9] offset:24 th:TH_ATOMIC_RETURN scope:SCOPE_SYS
	s_wait_loadcnt 0x0
	v_cmp_ne_u64_e32 vcc_lo, v[20:21], v[22:23]
	s_and_b32 exec_lo, exec_lo, vcc_lo
	s_cbranch_execz .LBB2_32
; %bb.106:                              ;   in Loop: Header=BB2_33 Depth=2
	s_mov_b32 s18, 0
.LBB2_107:                              ;   Parent Loop BB2_4 Depth=1
                                        ;     Parent Loop BB2_33 Depth=2
                                        ; =>    This Inner Loop Header: Depth=3
	v_dual_mov_b32 v18, s0 :: v_dual_mov_b32 v19, s1
	s_sleep 1
	global_store_b64 v[14:15], v[20:21], off
	global_wb scope:SCOPE_SYS
	s_wait_storecnt 0x0
	s_wait_xcnt 0x0
	global_atomic_cmpswap_b64 v[18:19], v1, v[18:21], s[8:9] offset:24 th:TH_ATOMIC_RETURN scope:SCOPE_SYS
	s_wait_loadcnt 0x0
	v_cmp_eq_u64_e32 vcc_lo, v[18:19], v[20:21]
	v_mov_b64_e32 v[20:21], v[18:19]
	s_or_b32 s18, vcc_lo, s18
	s_delay_alu instid0(SALU_CYCLE_1)
	s_and_not1_b32 exec_lo, exec_lo, s18
	s_cbranch_execnz .LBB2_107
	s_branch .LBB2_32
.LBB2_108:                              ;   in Loop: Header=BB2_4 Depth=1
.LBB2_109:                              ;   in Loop: Header=BB2_4 Depth=1
	s_and_b32 vcc_lo, exec_lo, s24
	s_cbranch_vccz .LBB2_216
.LBB2_110:                              ;   in Loop: Header=BB2_4 Depth=1
	s_wait_loadcnt 0x0
	v_dual_mov_b32 v15, v13 :: v_dual_bitop2_b32 v14, -3, v12 bitop3:0x40
	s_mov_b64 s[12:13], 56
	s_mov_b64 s[14:15], s[10:11]
	s_branch .LBB2_112
.LBB2_111:                              ;   in Loop: Header=BB2_112 Depth=2
	s_or_b32 exec_lo, exec_lo, s20
	s_sub_nc_u64 s[12:13], s[12:13], s[16:17]
	s_add_nc_u64 s[14:15], s[14:15], s[16:17]
	s_cmp_lg_u64 s[12:13], 0
	s_cbranch_scc0 .LBB2_187
.LBB2_112:                              ;   Parent Loop BB2_4 Depth=1
                                        ; =>  This Loop Header: Depth=2
                                        ;       Child Loop BB2_115 Depth 3
                                        ;       Child Loop BB2_122 Depth 3
	;; [unrolled: 1-line block ×11, first 2 shown]
	s_wait_loadcnt 0x0
	v_min_u64 v[16:17], s[12:13], 56
	v_cmp_gt_u64_e64 s0, s[12:13], 7
	s_and_b32 vcc_lo, exec_lo, s0
	v_readfirstlane_b32 s16, v16
	v_readfirstlane_b32 s17, v17
	s_cbranch_vccnz .LBB2_117
; %bb.113:                              ;   in Loop: Header=BB2_112 Depth=2
	v_mov_b64_e32 v[16:17], 0
	s_cmp_eq_u64 s[12:13], 0
	s_cbranch_scc1 .LBB2_116
; %bb.114:                              ;   in Loop: Header=BB2_112 Depth=2
	s_mov_b64 s[0:1], 0
	s_mov_b64 s[18:19], 0
.LBB2_115:                              ;   Parent Loop BB2_4 Depth=1
                                        ;     Parent Loop BB2_112 Depth=2
                                        ; =>    This Inner Loop Header: Depth=3
	s_wait_xcnt 0x0
	s_add_nc_u64 s[20:21], s[14:15], s[18:19]
	s_add_nc_u64 s[18:19], s[18:19], 1
	global_load_u8 v0, v1, s[20:21]
	s_cmp_lg_u32 s16, s18
	s_wait_loadcnt 0x0
	v_and_b32_e32 v0, 0xffff, v0
	s_delay_alu instid0(VALU_DEP_1) | instskip(SKIP_1) | instid1(VALU_DEP_1)
	v_lshlrev_b64_e32 v[18:19], s0, v[0:1]
	s_add_nc_u64 s[0:1], s[0:1], 8
	v_or_b32_e32 v16, v18, v16
	s_delay_alu instid0(VALU_DEP_2)
	v_or_b32_e32 v17, v19, v17
	s_cbranch_scc1 .LBB2_115
.LBB2_116:                              ;   in Loop: Header=BB2_112 Depth=2
	s_mov_b64 s[0:1], s[14:15]
	s_mov_b32 s26, 0
	s_cbranch_execz .LBB2_118
	s_branch .LBB2_119
.LBB2_117:                              ;   in Loop: Header=BB2_112 Depth=2
	s_add_nc_u64 s[0:1], s[14:15], 8
	s_mov_b32 s26, 0
.LBB2_118:                              ;   in Loop: Header=BB2_112 Depth=2
	global_load_b64 v[16:17], v1, s[14:15]
	s_add_co_i32 s26, s16, -8
.LBB2_119:                              ;   in Loop: Header=BB2_112 Depth=2
	s_delay_alu instid0(SALU_CYCLE_1)
	s_cmp_gt_u32 s26, 7
	s_cbranch_scc1 .LBB2_124
; %bb.120:                              ;   in Loop: Header=BB2_112 Depth=2
	v_mov_b64_e32 v[18:19], 0
	s_cmp_eq_u32 s26, 0
	s_cbranch_scc1 .LBB2_123
; %bb.121:                              ;   in Loop: Header=BB2_112 Depth=2
	s_mov_b64 s[18:19], 0
	s_wait_xcnt 0x0
	s_mov_b64 s[20:21], 0
.LBB2_122:                              ;   Parent Loop BB2_4 Depth=1
                                        ;     Parent Loop BB2_112 Depth=2
                                        ; =>    This Inner Loop Header: Depth=3
	s_wait_xcnt 0x0
	s_add_nc_u64 s[28:29], s[0:1], s[20:21]
	s_add_nc_u64 s[20:21], s[20:21], 1
	global_load_u8 v0, v1, s[28:29]
	s_cmp_lg_u32 s26, s20
	s_wait_loadcnt 0x0
	v_and_b32_e32 v0, 0xffff, v0
	s_delay_alu instid0(VALU_DEP_1) | instskip(SKIP_1) | instid1(VALU_DEP_1)
	v_lshlrev_b64_e32 v[20:21], s18, v[0:1]
	s_add_nc_u64 s[18:19], s[18:19], 8
	v_or_b32_e32 v18, v20, v18
	s_delay_alu instid0(VALU_DEP_2)
	v_or_b32_e32 v19, v21, v19
	s_cbranch_scc1 .LBB2_122
.LBB2_123:                              ;   in Loop: Header=BB2_112 Depth=2
	s_wait_xcnt 0x0
	s_mov_b64 s[18:19], s[0:1]
	s_mov_b32 s27, 0
	s_cbranch_execz .LBB2_125
	s_branch .LBB2_126
.LBB2_124:                              ;   in Loop: Header=BB2_112 Depth=2
	s_add_nc_u64 s[18:19], s[0:1], 8
	s_wait_xcnt 0x0
                                        ; implicit-def: $vgpr18_vgpr19
	s_mov_b32 s27, 0
.LBB2_125:                              ;   in Loop: Header=BB2_112 Depth=2
	global_load_b64 v[18:19], v1, s[0:1]
	s_add_co_i32 s27, s26, -8
.LBB2_126:                              ;   in Loop: Header=BB2_112 Depth=2
	s_delay_alu instid0(SALU_CYCLE_1)
	s_cmp_gt_u32 s27, 7
	s_cbranch_scc1 .LBB2_131
; %bb.127:                              ;   in Loop: Header=BB2_112 Depth=2
	v_mov_b64_e32 v[20:21], 0
	s_cmp_eq_u32 s27, 0
	s_cbranch_scc1 .LBB2_130
; %bb.128:                              ;   in Loop: Header=BB2_112 Depth=2
	s_wait_xcnt 0x0
	s_mov_b64 s[0:1], 0
	s_mov_b64 s[20:21], 0
.LBB2_129:                              ;   Parent Loop BB2_4 Depth=1
                                        ;     Parent Loop BB2_112 Depth=2
                                        ; =>    This Inner Loop Header: Depth=3
	s_wait_xcnt 0x0
	s_add_nc_u64 s[28:29], s[18:19], s[20:21]
	s_add_nc_u64 s[20:21], s[20:21], 1
	global_load_u8 v0, v1, s[28:29]
	s_cmp_lg_u32 s27, s20
	s_wait_loadcnt 0x0
	v_and_b32_e32 v0, 0xffff, v0
	s_delay_alu instid0(VALU_DEP_1) | instskip(SKIP_1) | instid1(VALU_DEP_1)
	v_lshlrev_b64_e32 v[22:23], s0, v[0:1]
	s_add_nc_u64 s[0:1], s[0:1], 8
	v_or_b32_e32 v20, v22, v20
	s_delay_alu instid0(VALU_DEP_2)
	v_or_b32_e32 v21, v23, v21
	s_cbranch_scc1 .LBB2_129
.LBB2_130:                              ;   in Loop: Header=BB2_112 Depth=2
	s_wait_xcnt 0x0
	s_mov_b64 s[0:1], s[18:19]
	s_mov_b32 s26, 0
	s_cbranch_execz .LBB2_132
	s_branch .LBB2_133
.LBB2_131:                              ;   in Loop: Header=BB2_112 Depth=2
	s_wait_xcnt 0x0
	s_add_nc_u64 s[0:1], s[18:19], 8
	s_mov_b32 s26, 0
.LBB2_132:                              ;   in Loop: Header=BB2_112 Depth=2
	global_load_b64 v[20:21], v1, s[18:19]
	s_add_co_i32 s26, s27, -8
.LBB2_133:                              ;   in Loop: Header=BB2_112 Depth=2
	s_delay_alu instid0(SALU_CYCLE_1)
	s_cmp_gt_u32 s26, 7
	s_cbranch_scc1 .LBB2_138
; %bb.134:                              ;   in Loop: Header=BB2_112 Depth=2
	v_mov_b64_e32 v[22:23], 0
	s_cmp_eq_u32 s26, 0
	s_cbranch_scc1 .LBB2_137
; %bb.135:                              ;   in Loop: Header=BB2_112 Depth=2
	s_wait_xcnt 0x0
	s_mov_b64 s[18:19], 0
	s_mov_b64 s[20:21], 0
.LBB2_136:                              ;   Parent Loop BB2_4 Depth=1
                                        ;     Parent Loop BB2_112 Depth=2
                                        ; =>    This Inner Loop Header: Depth=3
	s_wait_xcnt 0x0
	s_add_nc_u64 s[28:29], s[0:1], s[20:21]
	s_add_nc_u64 s[20:21], s[20:21], 1
	global_load_u8 v0, v1, s[28:29]
	s_cmp_lg_u32 s26, s20
	s_wait_loadcnt 0x0
	v_and_b32_e32 v0, 0xffff, v0
	s_delay_alu instid0(VALU_DEP_1) | instskip(SKIP_1) | instid1(VALU_DEP_1)
	v_lshlrev_b64_e32 v[24:25], s18, v[0:1]
	s_add_nc_u64 s[18:19], s[18:19], 8
	v_or_b32_e32 v22, v24, v22
	s_delay_alu instid0(VALU_DEP_2)
	v_or_b32_e32 v23, v25, v23
	s_cbranch_scc1 .LBB2_136
.LBB2_137:                              ;   in Loop: Header=BB2_112 Depth=2
	s_wait_xcnt 0x0
	s_mov_b64 s[18:19], s[0:1]
	s_mov_b32 s27, 0
	s_cbranch_execz .LBB2_139
	s_branch .LBB2_140
.LBB2_138:                              ;   in Loop: Header=BB2_112 Depth=2
	s_wait_xcnt 0x0
	s_add_nc_u64 s[18:19], s[0:1], 8
                                        ; implicit-def: $vgpr22_vgpr23
	s_mov_b32 s27, 0
.LBB2_139:                              ;   in Loop: Header=BB2_112 Depth=2
	global_load_b64 v[22:23], v1, s[0:1]
	s_add_co_i32 s27, s26, -8
.LBB2_140:                              ;   in Loop: Header=BB2_112 Depth=2
	s_delay_alu instid0(SALU_CYCLE_1)
	s_cmp_gt_u32 s27, 7
	s_cbranch_scc1 .LBB2_145
; %bb.141:                              ;   in Loop: Header=BB2_112 Depth=2
	v_mov_b64_e32 v[24:25], 0
	s_cmp_eq_u32 s27, 0
	s_cbranch_scc1 .LBB2_144
; %bb.142:                              ;   in Loop: Header=BB2_112 Depth=2
	s_wait_xcnt 0x0
	s_mov_b64 s[0:1], 0
	s_mov_b64 s[20:21], 0
.LBB2_143:                              ;   Parent Loop BB2_4 Depth=1
                                        ;     Parent Loop BB2_112 Depth=2
                                        ; =>    This Inner Loop Header: Depth=3
	s_wait_xcnt 0x0
	s_add_nc_u64 s[28:29], s[18:19], s[20:21]
	s_add_nc_u64 s[20:21], s[20:21], 1
	global_load_u8 v0, v1, s[28:29]
	s_cmp_lg_u32 s27, s20
	s_wait_loadcnt 0x0
	v_and_b32_e32 v0, 0xffff, v0
	s_delay_alu instid0(VALU_DEP_1) | instskip(SKIP_1) | instid1(VALU_DEP_1)
	v_lshlrev_b64_e32 v[26:27], s0, v[0:1]
	s_add_nc_u64 s[0:1], s[0:1], 8
	v_or_b32_e32 v24, v26, v24
	s_delay_alu instid0(VALU_DEP_2)
	v_or_b32_e32 v25, v27, v25
	s_cbranch_scc1 .LBB2_143
.LBB2_144:                              ;   in Loop: Header=BB2_112 Depth=2
	s_wait_xcnt 0x0
	s_mov_b64 s[0:1], s[18:19]
	s_mov_b32 s26, 0
	s_cbranch_execz .LBB2_146
	s_branch .LBB2_147
.LBB2_145:                              ;   in Loop: Header=BB2_112 Depth=2
	s_wait_xcnt 0x0
	s_add_nc_u64 s[0:1], s[18:19], 8
	s_mov_b32 s26, 0
.LBB2_146:                              ;   in Loop: Header=BB2_112 Depth=2
	global_load_b64 v[24:25], v1, s[18:19]
	s_add_co_i32 s26, s27, -8
.LBB2_147:                              ;   in Loop: Header=BB2_112 Depth=2
	s_delay_alu instid0(SALU_CYCLE_1)
	s_cmp_gt_u32 s26, 7
	s_cbranch_scc1 .LBB2_152
; %bb.148:                              ;   in Loop: Header=BB2_112 Depth=2
	v_mov_b64_e32 v[26:27], 0
	s_cmp_eq_u32 s26, 0
	s_cbranch_scc1 .LBB2_151
; %bb.149:                              ;   in Loop: Header=BB2_112 Depth=2
	s_wait_xcnt 0x0
	s_mov_b64 s[18:19], 0
	s_mov_b64 s[20:21], 0
.LBB2_150:                              ;   Parent Loop BB2_4 Depth=1
                                        ;     Parent Loop BB2_112 Depth=2
                                        ; =>    This Inner Loop Header: Depth=3
	s_wait_xcnt 0x0
	s_add_nc_u64 s[28:29], s[0:1], s[20:21]
	s_add_nc_u64 s[20:21], s[20:21], 1
	global_load_u8 v0, v1, s[28:29]
	s_cmp_lg_u32 s26, s20
	s_wait_loadcnt 0x0
	v_and_b32_e32 v0, 0xffff, v0
	s_delay_alu instid0(VALU_DEP_1) | instskip(SKIP_1) | instid1(VALU_DEP_1)
	v_lshlrev_b64_e32 v[28:29], s18, v[0:1]
	s_add_nc_u64 s[18:19], s[18:19], 8
	v_or_b32_e32 v26, v28, v26
	s_delay_alu instid0(VALU_DEP_2)
	v_or_b32_e32 v27, v29, v27
	s_cbranch_scc1 .LBB2_150
.LBB2_151:                              ;   in Loop: Header=BB2_112 Depth=2
	s_wait_xcnt 0x0
	s_mov_b64 s[18:19], s[0:1]
	s_mov_b32 s27, 0
	s_cbranch_execz .LBB2_153
	s_branch .LBB2_154
.LBB2_152:                              ;   in Loop: Header=BB2_112 Depth=2
	s_wait_xcnt 0x0
	s_add_nc_u64 s[18:19], s[0:1], 8
                                        ; implicit-def: $vgpr26_vgpr27
	s_mov_b32 s27, 0
.LBB2_153:                              ;   in Loop: Header=BB2_112 Depth=2
	global_load_b64 v[26:27], v1, s[0:1]
	s_add_co_i32 s27, s26, -8
.LBB2_154:                              ;   in Loop: Header=BB2_112 Depth=2
	s_delay_alu instid0(SALU_CYCLE_1)
	s_cmp_gt_u32 s27, 7
	s_cbranch_scc1 .LBB2_159
; %bb.155:                              ;   in Loop: Header=BB2_112 Depth=2
	v_mov_b64_e32 v[28:29], 0
	s_cmp_eq_u32 s27, 0
	s_cbranch_scc1 .LBB2_158
; %bb.156:                              ;   in Loop: Header=BB2_112 Depth=2
	s_wait_xcnt 0x0
	s_mov_b64 s[0:1], 0
	s_mov_b64 s[20:21], s[18:19]
.LBB2_157:                              ;   Parent Loop BB2_4 Depth=1
                                        ;     Parent Loop BB2_112 Depth=2
                                        ; =>    This Inner Loop Header: Depth=3
	global_load_u8 v0, v1, s[20:21]
	s_add_co_i32 s27, s27, -1
	s_wait_xcnt 0x0
	s_add_nc_u64 s[20:21], s[20:21], 1
	s_cmp_lg_u32 s27, 0
	s_wait_loadcnt 0x0
	v_and_b32_e32 v0, 0xffff, v0
	s_delay_alu instid0(VALU_DEP_1) | instskip(SKIP_1) | instid1(VALU_DEP_1)
	v_lshlrev_b64_e32 v[30:31], s0, v[0:1]
	s_add_nc_u64 s[0:1], s[0:1], 8
	v_or_b32_e32 v28, v30, v28
	s_delay_alu instid0(VALU_DEP_2)
	v_or_b32_e32 v29, v31, v29
	s_cbranch_scc1 .LBB2_157
.LBB2_158:                              ;   in Loop: Header=BB2_112 Depth=2
	s_wait_xcnt 0x0
	s_cbranch_execz .LBB2_160
	s_branch .LBB2_161
.LBB2_159:                              ;   in Loop: Header=BB2_112 Depth=2
	s_wait_xcnt 0x0
.LBB2_160:                              ;   in Loop: Header=BB2_112 Depth=2
	global_load_b64 v[28:29], v1, s[18:19]
.LBB2_161:                              ;   in Loop: Header=BB2_112 Depth=2
	v_readfirstlane_b32 s0, v34
	v_mov_b64_e32 v[40:41], 0
	s_delay_alu instid0(VALU_DEP_2)
	v_cmp_eq_u32_e64 s0, s0, v34
	s_wait_xcnt 0x0
	s_and_saveexec_b32 s1, s0
	s_cbranch_execz .LBB2_167
; %bb.162:                              ;   in Loop: Header=BB2_112 Depth=2
	global_load_b64 v[32:33], v1, s[8:9] offset:24 scope:SCOPE_SYS
	s_wait_loadcnt 0x0
	global_inv scope:SCOPE_SYS
	s_clause 0x1
	global_load_b64 v[30:31], v1, s[8:9] offset:40
	global_load_b64 v[40:41], v1, s[8:9]
	s_mov_b32 s18, exec_lo
	s_wait_loadcnt 0x1
	v_and_b32_e32 v30, v30, v32
	v_and_b32_e32 v31, v31, v33
	s_delay_alu instid0(VALU_DEP_1) | instskip(SKIP_1) | instid1(VALU_DEP_1)
	v_mul_u64_e32 v[30:31], 24, v[30:31]
	s_wait_loadcnt 0x0
	v_add_nc_u64_e32 v[30:31], v[40:41], v[30:31]
	global_load_b64 v[30:31], v[30:31], off scope:SCOPE_SYS
	s_wait_xcnt 0x0
	s_wait_loadcnt 0x0
	global_atomic_cmpswap_b64 v[40:41], v1, v[30:33], s[8:9] offset:24 th:TH_ATOMIC_RETURN scope:SCOPE_SYS
	s_wait_loadcnt 0x0
	global_inv scope:SCOPE_SYS
	s_wait_xcnt 0x0
	v_cmpx_ne_u64_e64 v[40:41], v[32:33]
	s_cbranch_execz .LBB2_166
; %bb.163:                              ;   in Loop: Header=BB2_112 Depth=2
	s_mov_b32 s19, 0
.LBB2_164:                              ;   Parent Loop BB2_4 Depth=1
                                        ;     Parent Loop BB2_112 Depth=2
                                        ; =>    This Inner Loop Header: Depth=3
	s_sleep 1
	s_clause 0x1
	global_load_b64 v[30:31], v1, s[8:9] offset:40
	global_load_b64 v[42:43], v1, s[8:9]
	v_mov_b64_e32 v[32:33], v[40:41]
	s_wait_loadcnt 0x1
	s_delay_alu instid0(VALU_DEP_1) | instskip(SKIP_1) | instid1(VALU_DEP_1)
	v_and_b32_e32 v0, v30, v32
	s_wait_loadcnt 0x0
	v_mad_nc_u64_u32 v[40:41], v0, 24, v[42:43]
	s_delay_alu instid0(VALU_DEP_3) | instskip(NEXT) | instid1(VALU_DEP_1)
	v_and_b32_e32 v0, v31, v33
	v_mad_u32 v41, v0, 24, v41
	global_load_b64 v[30:31], v[40:41], off scope:SCOPE_SYS
	s_wait_xcnt 0x0
	s_wait_loadcnt 0x0
	global_atomic_cmpswap_b64 v[40:41], v1, v[30:33], s[8:9] offset:24 th:TH_ATOMIC_RETURN scope:SCOPE_SYS
	s_wait_loadcnt 0x0
	global_inv scope:SCOPE_SYS
	v_cmp_eq_u64_e32 vcc_lo, v[40:41], v[32:33]
	s_or_b32 s19, vcc_lo, s19
	s_wait_xcnt 0x0
	s_and_not1_b32 exec_lo, exec_lo, s19
	s_cbranch_execnz .LBB2_164
; %bb.165:                              ;   in Loop: Header=BB2_112 Depth=2
	s_or_b32 exec_lo, exec_lo, s19
.LBB2_166:                              ;   in Loop: Header=BB2_112 Depth=2
	s_delay_alu instid0(SALU_CYCLE_1)
	s_or_b32 exec_lo, exec_lo, s18
.LBB2_167:                              ;   in Loop: Header=BB2_112 Depth=2
	s_delay_alu instid0(SALU_CYCLE_1)
	s_or_b32 exec_lo, exec_lo, s1
	s_clause 0x1
	global_load_b64 v[42:43], v1, s[8:9] offset:40
	global_load_b128 v[30:33], v1, s[8:9]
	v_readfirstlane_b32 s18, v40
	v_readfirstlane_b32 s19, v41
	s_mov_b32 s1, exec_lo
	s_wait_loadcnt 0x1
	v_and_b32_e32 v42, s18, v42
	v_and_b32_e32 v43, s19, v43
	s_delay_alu instid0(VALU_DEP_1) | instskip(SKIP_1) | instid1(VALU_DEP_1)
	v_mul_u64_e32 v[40:41], 24, v[42:43]
	s_wait_loadcnt 0x0
	v_add_nc_u64_e32 v[40:41], v[30:31], v[40:41]
	s_wait_xcnt 0x0
	s_and_saveexec_b32 s20, s0
	s_cbranch_execz .LBB2_169
; %bb.168:                              ;   in Loop: Header=BB2_112 Depth=2
	v_mov_b32_e32 v0, s1
	global_store_b128 v[40:41], v[0:3], off offset:8
.LBB2_169:                              ;   in Loop: Header=BB2_112 Depth=2
	s_wait_xcnt 0x0
	s_or_b32 exec_lo, exec_lo, s20
	v_cmp_gt_u64_e64 s1, s[12:13], 56
	v_lshlrev_b64_e32 v[42:43], 12, v[42:43]
	v_and_b32_e32 v0, 0xffffff1f, v14
	s_and_b32 s1, s1, exec_lo
	s_delay_alu instid0(VALU_DEP_2) | instskip(SKIP_4) | instid1(VALU_DEP_2)
	v_add_nc_u64_e32 v[32:33], v[32:33], v[42:43]
	s_cselect_b32 s1, 0, 2
	s_lshl_b32 s20, s16, 2
	v_or_b32_e32 v0, s1, v0
	s_add_co_i32 s1, s20, 28
	v_readfirstlane_b32 s20, v32
	s_delay_alu instid0(VALU_DEP_3) | instskip(NEXT) | instid1(VALU_DEP_3)
	v_readfirstlane_b32 s21, v33
	v_and_or_b32 v14, 0x1e0, s1, v0
	s_clause 0x3
	global_store_b128 v36, v[14:17], s[20:21]
	global_store_b128 v36, v[18:21], s[20:21] offset:16
	global_store_b128 v36, v[22:25], s[20:21] offset:32
	;; [unrolled: 1-line block ×3, first 2 shown]
	s_wait_xcnt 0x0
	s_and_saveexec_b32 s1, s0
	s_cbranch_execz .LBB2_177
; %bb.170:                              ;   in Loop: Header=BB2_112 Depth=2
	s_clause 0x1
	global_load_b64 v[22:23], v1, s[8:9] offset:32 scope:SCOPE_SYS
	global_load_b64 v[14:15], v1, s[8:9] offset:40
	s_mov_b32 s20, exec_lo
	v_dual_mov_b32 v20, s18 :: v_dual_mov_b32 v21, s19
	s_wait_loadcnt 0x0
	v_and_b32_e32 v15, s19, v15
	v_and_b32_e32 v14, s18, v14
	s_delay_alu instid0(VALU_DEP_1) | instskip(NEXT) | instid1(VALU_DEP_1)
	v_mul_u64_e32 v[14:15], 24, v[14:15]
	v_add_nc_u64_e32 v[18:19], v[30:31], v[14:15]
	global_store_b64 v[18:19], v[22:23], off
	global_wb scope:SCOPE_SYS
	s_wait_storecnt 0x0
	s_wait_xcnt 0x0
	global_atomic_cmpswap_b64 v[16:17], v1, v[20:23], s[8:9] offset:32 th:TH_ATOMIC_RETURN scope:SCOPE_SYS
	s_wait_loadcnt 0x0
	v_cmpx_ne_u64_e64 v[16:17], v[22:23]
	s_cbranch_execz .LBB2_173
; %bb.171:                              ;   in Loop: Header=BB2_112 Depth=2
	s_mov_b32 s21, 0
.LBB2_172:                              ;   Parent Loop BB2_4 Depth=1
                                        ;     Parent Loop BB2_112 Depth=2
                                        ; =>    This Inner Loop Header: Depth=3
	v_dual_mov_b32 v14, s18 :: v_dual_mov_b32 v15, s19
	s_sleep 1
	global_store_b64 v[18:19], v[16:17], off
	global_wb scope:SCOPE_SYS
	s_wait_storecnt 0x0
	s_wait_xcnt 0x0
	global_atomic_cmpswap_b64 v[14:15], v1, v[14:17], s[8:9] offset:32 th:TH_ATOMIC_RETURN scope:SCOPE_SYS
	s_wait_loadcnt 0x0
	v_cmp_eq_u64_e32 vcc_lo, v[14:15], v[16:17]
	v_mov_b64_e32 v[16:17], v[14:15]
	s_or_b32 s21, vcc_lo, s21
	s_delay_alu instid0(SALU_CYCLE_1)
	s_and_not1_b32 exec_lo, exec_lo, s21
	s_cbranch_execnz .LBB2_172
.LBB2_173:                              ;   in Loop: Header=BB2_112 Depth=2
	s_or_b32 exec_lo, exec_lo, s20
	global_load_b64 v[14:15], v1, s[8:9] offset:16
	s_mov_b32 s21, exec_lo
	s_mov_b32 s20, exec_lo
	v_mbcnt_lo_u32_b32 v0, s21, 0
	s_wait_xcnt 0x0
	s_delay_alu instid0(VALU_DEP_1)
	v_cmpx_eq_u32_e32 0, v0
	s_cbranch_execz .LBB2_175
; %bb.174:                              ;   in Loop: Header=BB2_112 Depth=2
	s_bcnt1_i32_b32 s21, s21
	s_delay_alu instid0(SALU_CYCLE_1)
	v_mov_b32_e32 v0, s21
	global_wb scope:SCOPE_SYS
	s_wait_loadcnt 0x0
	s_wait_storecnt 0x0
	global_atomic_add_u64 v[14:15], v[0:1], off offset:8 scope:SCOPE_SYS
.LBB2_175:                              ;   in Loop: Header=BB2_112 Depth=2
	s_wait_xcnt 0x0
	s_or_b32 exec_lo, exec_lo, s20
	s_wait_loadcnt 0x0
	global_load_b64 v[16:17], v[14:15], off offset:16
	s_wait_loadcnt 0x0
	v_cmp_eq_u64_e32 vcc_lo, 0, v[16:17]
	s_cbranch_vccnz .LBB2_177
; %bb.176:                              ;   in Loop: Header=BB2_112 Depth=2
	global_load_b32 v0, v[14:15], off offset:24
	s_wait_loadcnt 0x0
	v_readfirstlane_b32 s20, v0
	global_wb scope:SCOPE_SYS
	s_wait_storecnt 0x0
	s_wait_xcnt 0x0
	global_store_b64 v[16:17], v[0:1], off scope:SCOPE_SYS
	s_and_b32 m0, s20, 0xffffff
	s_sendmsg sendmsg(MSG_INTERRUPT)
.LBB2_177:                              ;   in Loop: Header=BB2_112 Depth=2
	s_wait_xcnt 0x0
	s_or_b32 exec_lo, exec_lo, s1
	v_mov_b32_e32 v37, v1
	s_delay_alu instid0(VALU_DEP_1)
	v_add_nc_u64_e32 v[14:15], v[32:33], v[36:37]
	s_branch .LBB2_181
.LBB2_178:                              ;   in Loop: Header=BB2_181 Depth=3
	s_wait_xcnt 0x0
	s_or_b32 exec_lo, exec_lo, s1
	s_delay_alu instid0(VALU_DEP_1)
	v_readfirstlane_b32 s1, v0
	s_cmp_eq_u32 s1, 0
	s_cbranch_scc1 .LBB2_180
; %bb.179:                              ;   in Loop: Header=BB2_181 Depth=3
	s_sleep 1
	s_cbranch_execnz .LBB2_181
	s_branch .LBB2_183
.LBB2_180:                              ;   in Loop: Header=BB2_112 Depth=2
	s_branch .LBB2_183
.LBB2_181:                              ;   Parent Loop BB2_4 Depth=1
                                        ;     Parent Loop BB2_112 Depth=2
                                        ; =>    This Inner Loop Header: Depth=3
	v_mov_b32_e32 v0, 1
	s_and_saveexec_b32 s1, s0
	s_cbranch_execz .LBB2_178
; %bb.182:                              ;   in Loop: Header=BB2_181 Depth=3
	global_load_b32 v0, v[40:41], off offset:20 scope:SCOPE_SYS
	s_wait_loadcnt 0x0
	global_inv scope:SCOPE_SYS
	v_and_b32_e32 v0, 1, v0
	s_branch .LBB2_178
.LBB2_183:                              ;   in Loop: Header=BB2_112 Depth=2
	global_load_b128 v[14:17], v[14:15], off
	s_wait_xcnt 0x0
	s_and_saveexec_b32 s20, s0
	s_cbranch_execz .LBB2_111
; %bb.184:                              ;   in Loop: Header=BB2_112 Depth=2
	s_wait_loadcnt 0x0
	s_clause 0x2
	global_load_b64 v[16:17], v1, s[8:9] offset:40
	global_load_b64 v[24:25], v1, s[8:9] offset:24 scope:SCOPE_SYS
	global_load_b64 v[18:19], v1, s[8:9]
	s_wait_loadcnt 0x2
	v_readfirstlane_b32 s26, v16
	v_readfirstlane_b32 s27, v17
	s_add_nc_u64 s[0:1], s[26:27], 1
	s_delay_alu instid0(SALU_CYCLE_1) | instskip(NEXT) | instid1(SALU_CYCLE_1)
	s_add_nc_u64 s[18:19], s[0:1], s[18:19]
	s_cmp_eq_u64 s[18:19], 0
	s_cselect_b32 s1, s1, s19
	s_cselect_b32 s0, s0, s18
	s_delay_alu instid0(SALU_CYCLE_1) | instskip(SKIP_1) | instid1(SALU_CYCLE_1)
	v_dual_mov_b32 v23, s1 :: v_dual_mov_b32 v22, s0
	s_and_b64 s[18:19], s[0:1], s[26:27]
	s_mul_u64 s[18:19], s[18:19], 24
	s_wait_loadcnt 0x0
	v_add_nc_u64_e32 v[20:21], s[18:19], v[18:19]
	global_store_b64 v[20:21], v[24:25], off
	global_wb scope:SCOPE_SYS
	s_wait_storecnt 0x0
	s_wait_xcnt 0x0
	global_atomic_cmpswap_b64 v[18:19], v1, v[22:25], s[8:9] offset:24 th:TH_ATOMIC_RETURN scope:SCOPE_SYS
	s_wait_loadcnt 0x0
	v_cmp_ne_u64_e32 vcc_lo, v[18:19], v[24:25]
	s_and_b32 exec_lo, exec_lo, vcc_lo
	s_cbranch_execz .LBB2_111
; %bb.185:                              ;   in Loop: Header=BB2_112 Depth=2
	s_mov_b32 s18, 0
.LBB2_186:                              ;   Parent Loop BB2_4 Depth=1
                                        ;     Parent Loop BB2_112 Depth=2
                                        ; =>    This Inner Loop Header: Depth=3
	v_dual_mov_b32 v16, s0 :: v_dual_mov_b32 v17, s1
	s_sleep 1
	global_store_b64 v[20:21], v[18:19], off
	global_wb scope:SCOPE_SYS
	s_wait_storecnt 0x0
	s_wait_xcnt 0x0
	global_atomic_cmpswap_b64 v[16:17], v1, v[16:19], s[8:9] offset:24 th:TH_ATOMIC_RETURN scope:SCOPE_SYS
	s_wait_loadcnt 0x0
	v_cmp_eq_u64_e32 vcc_lo, v[16:17], v[18:19]
	v_mov_b64_e32 v[18:19], v[16:17]
	s_or_b32 s18, vcc_lo, s18
	s_delay_alu instid0(SALU_CYCLE_1)
	s_and_not1_b32 exec_lo, exec_lo, s18
	s_cbranch_execnz .LBB2_186
	s_branch .LBB2_111
.LBB2_187:                              ;   in Loop: Header=BB2_4 Depth=1
	s_branch .LBB2_3
.LBB2_188:                              ;   in Loop: Header=BB2_4 Depth=1
                                        ; implicit-def: $vgpr12_vgpr13
	s_cbranch_execz .LBB2_109
; %bb.189:                              ;   in Loop: Header=BB2_4 Depth=1
	v_readfirstlane_b32 s0, v34
	v_mov_b64_e32 v[18:19], 0
	s_delay_alu instid0(VALU_DEP_2)
	v_cmp_eq_u32_e64 s0, s0, v34
	s_and_saveexec_b32 s1, s0
	s_cbranch_execz .LBB2_195
; %bb.190:                              ;   in Loop: Header=BB2_4 Depth=1
	global_load_b64 v[14:15], v1, s[8:9] offset:24 scope:SCOPE_SYS
	s_wait_loadcnt 0x0
	global_inv scope:SCOPE_SYS
	s_clause 0x1
	global_load_b64 v[12:13], v1, s[8:9] offset:40
	global_load_b64 v[18:19], v1, s[8:9]
	s_mov_b32 s12, exec_lo
	s_wait_loadcnt 0x1
	v_and_b32_e32 v12, v12, v14
	v_and_b32_e32 v13, v13, v15
	s_delay_alu instid0(VALU_DEP_1) | instskip(SKIP_1) | instid1(VALU_DEP_1)
	v_mul_u64_e32 v[12:13], 24, v[12:13]
	s_wait_loadcnt 0x0
	v_add_nc_u64_e32 v[12:13], v[18:19], v[12:13]
	global_load_b64 v[12:13], v[12:13], off scope:SCOPE_SYS
	s_wait_xcnt 0x0
	s_wait_loadcnt 0x0
	global_atomic_cmpswap_b64 v[18:19], v1, v[12:15], s[8:9] offset:24 th:TH_ATOMIC_RETURN scope:SCOPE_SYS
	s_wait_loadcnt 0x0
	global_inv scope:SCOPE_SYS
	s_wait_xcnt 0x0
	v_cmpx_ne_u64_e64 v[18:19], v[14:15]
	s_cbranch_execz .LBB2_194
; %bb.191:                              ;   in Loop: Header=BB2_4 Depth=1
	s_mov_b32 s13, 0
.LBB2_192:                              ;   Parent Loop BB2_4 Depth=1
                                        ; =>  This Inner Loop Header: Depth=2
	s_sleep 1
	s_clause 0x1
	global_load_b64 v[12:13], v1, s[8:9] offset:40
	global_load_b64 v[20:21], v1, s[8:9]
	v_mov_b64_e32 v[14:15], v[18:19]
	s_wait_loadcnt 0x1
	s_delay_alu instid0(VALU_DEP_1) | instskip(SKIP_1) | instid1(VALU_DEP_1)
	v_and_b32_e32 v0, v12, v14
	s_wait_loadcnt 0x0
	v_mad_nc_u64_u32 v[18:19], v0, 24, v[20:21]
	s_delay_alu instid0(VALU_DEP_3) | instskip(NEXT) | instid1(VALU_DEP_1)
	v_and_b32_e32 v0, v13, v15
	v_mad_u32 v19, v0, 24, v19
	global_load_b64 v[12:13], v[18:19], off scope:SCOPE_SYS
	s_wait_xcnt 0x0
	s_wait_loadcnt 0x0
	global_atomic_cmpswap_b64 v[18:19], v1, v[12:15], s[8:9] offset:24 th:TH_ATOMIC_RETURN scope:SCOPE_SYS
	s_wait_loadcnt 0x0
	global_inv scope:SCOPE_SYS
	v_cmp_eq_u64_e32 vcc_lo, v[18:19], v[14:15]
	s_or_b32 s13, vcc_lo, s13
	s_wait_xcnt 0x0
	s_and_not1_b32 exec_lo, exec_lo, s13
	s_cbranch_execnz .LBB2_192
; %bb.193:                              ;   in Loop: Header=BB2_4 Depth=1
	s_or_b32 exec_lo, exec_lo, s13
.LBB2_194:                              ;   in Loop: Header=BB2_4 Depth=1
	s_delay_alu instid0(SALU_CYCLE_1)
	s_or_b32 exec_lo, exec_lo, s12
.LBB2_195:                              ;   in Loop: Header=BB2_4 Depth=1
	s_delay_alu instid0(SALU_CYCLE_1)
	s_or_b32 exec_lo, exec_lo, s1
	global_load_b64 v[20:21], v1, s[8:9] offset:40
	s_wait_loadcnt 0x1
	global_load_b128 v[12:15], v1, s[8:9]
	v_readfirstlane_b32 s12, v18
	v_readfirstlane_b32 s13, v19
	s_mov_b32 s1, exec_lo
	s_wait_loadcnt 0x1
	v_and_b32_e32 v18, s12, v20
	v_and_b32_e32 v19, s13, v21
	s_delay_alu instid0(VALU_DEP_1) | instskip(SKIP_1) | instid1(VALU_DEP_1)
	v_mul_u64_e32 v[20:21], 24, v[18:19]
	s_wait_loadcnt 0x0
	v_add_nc_u64_e32 v[20:21], v[12:13], v[20:21]
	s_wait_xcnt 0x0
	s_and_saveexec_b32 s14, s0
	s_cbranch_execz .LBB2_197
; %bb.196:                              ;   in Loop: Header=BB2_4 Depth=1
	v_mov_b32_e32 v0, s1
	global_store_b128 v[20:21], v[0:3], off offset:8
.LBB2_197:                              ;   in Loop: Header=BB2_4 Depth=1
	s_wait_xcnt 0x0
	s_or_b32 exec_lo, exec_lo, s14
	v_lshlrev_b64_e32 v[18:19], 12, v[18:19]
	v_mov_b64_e32 v[26:27], s[6:7]
	v_mov_b64_e32 v[24:25], s[4:5]
	v_and_or_b32 v16, 0xffffff1f, v16, 32
	s_delay_alu instid0(VALU_DEP_4) | instskip(SKIP_1) | instid1(VALU_DEP_2)
	v_add_nc_u64_e32 v[22:23], v[14:15], v[18:19]
	v_dual_mov_b32 v18, v1 :: v_dual_mov_b32 v19, v1
	v_readfirstlane_b32 s14, v22
	s_delay_alu instid0(VALU_DEP_3)
	v_readfirstlane_b32 s15, v23
	s_clause 0x3
	global_store_b128 v36, v[16:19], s[14:15]
	global_store_b128 v36, v[24:27], s[14:15] offset:16
	global_store_b128 v36, v[24:27], s[14:15] offset:32
	;; [unrolled: 1-line block ×3, first 2 shown]
	s_wait_xcnt 0x0
	s_and_saveexec_b32 s1, s0
	s_cbranch_execz .LBB2_205
; %bb.198:                              ;   in Loop: Header=BB2_4 Depth=1
	s_clause 0x1
	global_load_b64 v[26:27], v1, s[8:9] offset:32 scope:SCOPE_SYS
	global_load_b64 v[14:15], v1, s[8:9] offset:40
	s_mov_b32 s14, exec_lo
	v_dual_mov_b32 v24, s12 :: v_dual_mov_b32 v25, s13
	s_wait_loadcnt 0x0
	v_and_b32_e32 v15, s13, v15
	v_and_b32_e32 v14, s12, v14
	s_delay_alu instid0(VALU_DEP_1) | instskip(NEXT) | instid1(VALU_DEP_1)
	v_mul_u64_e32 v[14:15], 24, v[14:15]
	v_add_nc_u64_e32 v[16:17], v[12:13], v[14:15]
	global_store_b64 v[16:17], v[26:27], off
	global_wb scope:SCOPE_SYS
	s_wait_storecnt 0x0
	s_wait_xcnt 0x0
	global_atomic_cmpswap_b64 v[14:15], v1, v[24:27], s[8:9] offset:32 th:TH_ATOMIC_RETURN scope:SCOPE_SYS
	s_wait_loadcnt 0x0
	v_cmpx_ne_u64_e64 v[14:15], v[26:27]
	s_cbranch_execz .LBB2_201
; %bb.199:                              ;   in Loop: Header=BB2_4 Depth=1
	s_mov_b32 s15, 0
.LBB2_200:                              ;   Parent Loop BB2_4 Depth=1
                                        ; =>  This Inner Loop Header: Depth=2
	v_dual_mov_b32 v12, s12 :: v_dual_mov_b32 v13, s13
	s_sleep 1
	global_store_b64 v[16:17], v[14:15], off
	global_wb scope:SCOPE_SYS
	s_wait_storecnt 0x0
	s_wait_xcnt 0x0
	global_atomic_cmpswap_b64 v[12:13], v1, v[12:15], s[8:9] offset:32 th:TH_ATOMIC_RETURN scope:SCOPE_SYS
	s_wait_loadcnt 0x0
	v_cmp_eq_u64_e32 vcc_lo, v[12:13], v[14:15]
	v_mov_b64_e32 v[14:15], v[12:13]
	s_or_b32 s15, vcc_lo, s15
	s_delay_alu instid0(SALU_CYCLE_1)
	s_and_not1_b32 exec_lo, exec_lo, s15
	s_cbranch_execnz .LBB2_200
.LBB2_201:                              ;   in Loop: Header=BB2_4 Depth=1
	s_or_b32 exec_lo, exec_lo, s14
	global_load_b64 v[12:13], v1, s[8:9] offset:16
	s_mov_b32 s15, exec_lo
	s_mov_b32 s14, exec_lo
	v_mbcnt_lo_u32_b32 v0, s15, 0
	s_wait_xcnt 0x0
	s_delay_alu instid0(VALU_DEP_1)
	v_cmpx_eq_u32_e32 0, v0
	s_cbranch_execz .LBB2_203
; %bb.202:                              ;   in Loop: Header=BB2_4 Depth=1
	s_bcnt1_i32_b32 s15, s15
	s_delay_alu instid0(SALU_CYCLE_1)
	v_mov_b32_e32 v0, s15
	global_wb scope:SCOPE_SYS
	s_wait_loadcnt 0x0
	s_wait_storecnt 0x0
	global_atomic_add_u64 v[12:13], v[0:1], off offset:8 scope:SCOPE_SYS
.LBB2_203:                              ;   in Loop: Header=BB2_4 Depth=1
	s_wait_xcnt 0x0
	s_or_b32 exec_lo, exec_lo, s14
	s_wait_loadcnt 0x0
	global_load_b64 v[14:15], v[12:13], off offset:16
	s_wait_loadcnt 0x0
	v_cmp_eq_u64_e32 vcc_lo, 0, v[14:15]
	s_cbranch_vccnz .LBB2_205
; %bb.204:                              ;   in Loop: Header=BB2_4 Depth=1
	global_load_b32 v0, v[12:13], off offset:24
	s_wait_loadcnt 0x0
	v_readfirstlane_b32 s14, v0
	global_wb scope:SCOPE_SYS
	s_wait_storecnt 0x0
	s_wait_xcnt 0x0
	global_store_b64 v[14:15], v[0:1], off scope:SCOPE_SYS
	s_and_b32 m0, s14, 0xffffff
	s_sendmsg sendmsg(MSG_INTERRUPT)
.LBB2_205:                              ;   in Loop: Header=BB2_4 Depth=1
	s_wait_xcnt 0x0
	s_or_b32 exec_lo, exec_lo, s1
	v_mov_b32_e32 v37, v1
	s_delay_alu instid0(VALU_DEP_1)
	v_add_nc_u64_e32 v[12:13], v[22:23], v[36:37]
	s_branch .LBB2_209
.LBB2_206:                              ;   in Loop: Header=BB2_209 Depth=2
	s_wait_xcnt 0x0
	s_or_b32 exec_lo, exec_lo, s1
	s_delay_alu instid0(VALU_DEP_1)
	v_readfirstlane_b32 s1, v0
	s_cmp_eq_u32 s1, 0
	s_cbranch_scc1 .LBB2_208
; %bb.207:                              ;   in Loop: Header=BB2_209 Depth=2
	s_sleep 1
	s_cbranch_execnz .LBB2_209
	s_branch .LBB2_211
.LBB2_208:                              ;   in Loop: Header=BB2_4 Depth=1
	s_branch .LBB2_211
.LBB2_209:                              ;   Parent Loop BB2_4 Depth=1
                                        ; =>  This Inner Loop Header: Depth=2
	v_mov_b32_e32 v0, 1
	s_and_saveexec_b32 s1, s0
	s_cbranch_execz .LBB2_206
; %bb.210:                              ;   in Loop: Header=BB2_209 Depth=2
	global_load_b32 v0, v[20:21], off offset:20 scope:SCOPE_SYS
	s_wait_loadcnt 0x0
	global_inv scope:SCOPE_SYS
	v_and_b32_e32 v0, 1, v0
	s_branch .LBB2_206
.LBB2_211:                              ;   in Loop: Header=BB2_4 Depth=1
	global_load_b64 v[12:13], v[12:13], off
	s_wait_xcnt 0x0
	s_and_saveexec_b32 s14, s0
	s_cbranch_execz .LBB2_215
; %bb.212:                              ;   in Loop: Header=BB2_4 Depth=1
	s_clause 0x2
	global_load_b64 v[14:15], v1, s[8:9] offset:40
	global_load_b64 v[22:23], v1, s[8:9] offset:24 scope:SCOPE_SYS
	global_load_b64 v[16:17], v1, s[8:9]
	s_wait_loadcnt 0x2
	v_readfirstlane_b32 s16, v14
	v_readfirstlane_b32 s17, v15
	s_add_nc_u64 s[0:1], s[16:17], 1
	s_delay_alu instid0(SALU_CYCLE_1) | instskip(NEXT) | instid1(SALU_CYCLE_1)
	s_add_nc_u64 s[12:13], s[0:1], s[12:13]
	s_cmp_eq_u64 s[12:13], 0
	s_cselect_b32 s1, s1, s13
	s_cselect_b32 s0, s0, s12
	s_delay_alu instid0(SALU_CYCLE_1) | instskip(SKIP_1) | instid1(SALU_CYCLE_1)
	v_dual_mov_b32 v21, s1 :: v_dual_mov_b32 v20, s0
	s_and_b64 s[12:13], s[0:1], s[16:17]
	s_mul_u64 s[12:13], s[12:13], 24
	s_wait_loadcnt 0x0
	v_add_nc_u64_e32 v[18:19], s[12:13], v[16:17]
	global_store_b64 v[18:19], v[22:23], off
	global_wb scope:SCOPE_SYS
	s_wait_storecnt 0x0
	s_wait_xcnt 0x0
	global_atomic_cmpswap_b64 v[16:17], v1, v[20:23], s[8:9] offset:24 th:TH_ATOMIC_RETURN scope:SCOPE_SYS
	s_wait_loadcnt 0x0
	v_cmp_ne_u64_e32 vcc_lo, v[16:17], v[22:23]
	s_and_b32 exec_lo, exec_lo, vcc_lo
	s_cbranch_execz .LBB2_215
; %bb.213:                              ;   in Loop: Header=BB2_4 Depth=1
	s_mov_b32 s12, 0
.LBB2_214:                              ;   Parent Loop BB2_4 Depth=1
                                        ; =>  This Inner Loop Header: Depth=2
	v_dual_mov_b32 v14, s0 :: v_dual_mov_b32 v15, s1
	s_sleep 1
	global_store_b64 v[18:19], v[16:17], off
	global_wb scope:SCOPE_SYS
	s_wait_storecnt 0x0
	s_wait_xcnt 0x0
	global_atomic_cmpswap_b64 v[14:15], v1, v[14:17], s[8:9] offset:24 th:TH_ATOMIC_RETURN scope:SCOPE_SYS
	s_wait_loadcnt 0x0
	v_cmp_eq_u64_e32 vcc_lo, v[14:15], v[16:17]
	v_mov_b64_e32 v[16:17], v[14:15]
	s_or_b32 s12, vcc_lo, s12
	s_delay_alu instid0(SALU_CYCLE_1)
	s_and_not1_b32 exec_lo, exec_lo, s12
	s_cbranch_execnz .LBB2_214
.LBB2_215:                              ;   in Loop: Header=BB2_4 Depth=1
	s_or_b32 exec_lo, exec_lo, s14
	s_delay_alu instid0(SALU_CYCLE_1)
	s_and_b32 vcc_lo, exec_lo, s24
	s_cbranch_vccnz .LBB2_110
.LBB2_216:                              ;   in Loop: Header=BB2_4 Depth=1
	s_cbranch_execz .LBB2_3
; %bb.217:                              ;   in Loop: Header=BB2_4 Depth=1
	v_readfirstlane_b32 s0, v34
	s_wait_loadcnt 0x0
	v_mov_b64_e32 v[14:15], 0
	s_delay_alu instid0(VALU_DEP_2)
	v_cmp_eq_u32_e64 s0, s0, v34
	s_and_saveexec_b32 s1, s0
	s_cbranch_execz .LBB2_223
; %bb.218:                              ;   in Loop: Header=BB2_4 Depth=1
	global_load_b64 v[16:17], v1, s[8:9] offset:24 scope:SCOPE_SYS
	s_wait_loadcnt 0x0
	global_inv scope:SCOPE_SYS
	s_clause 0x1
	global_load_b64 v[14:15], v1, s[8:9] offset:40
	global_load_b64 v[18:19], v1, s[8:9]
	s_mov_b32 s12, exec_lo
	s_wait_loadcnt 0x1
	v_and_b32_e32 v14, v14, v16
	v_and_b32_e32 v15, v15, v17
	s_delay_alu instid0(VALU_DEP_1) | instskip(SKIP_1) | instid1(VALU_DEP_1)
	v_mul_u64_e32 v[14:15], 24, v[14:15]
	s_wait_loadcnt 0x0
	v_add_nc_u64_e32 v[14:15], v[18:19], v[14:15]
	global_load_b64 v[14:15], v[14:15], off scope:SCOPE_SYS
	s_wait_xcnt 0x0
	s_wait_loadcnt 0x0
	global_atomic_cmpswap_b64 v[14:15], v1, v[14:17], s[8:9] offset:24 th:TH_ATOMIC_RETURN scope:SCOPE_SYS
	s_wait_loadcnt 0x0
	global_inv scope:SCOPE_SYS
	s_wait_xcnt 0x0
	v_cmpx_ne_u64_e64 v[14:15], v[16:17]
	s_cbranch_execz .LBB2_222
; %bb.219:                              ;   in Loop: Header=BB2_4 Depth=1
	s_mov_b32 s13, 0
.LBB2_220:                              ;   Parent Loop BB2_4 Depth=1
                                        ; =>  This Inner Loop Header: Depth=2
	s_sleep 1
	s_clause 0x1
	global_load_b64 v[18:19], v1, s[8:9] offset:40
	global_load_b64 v[20:21], v1, s[8:9]
	v_mov_b64_e32 v[16:17], v[14:15]
	s_wait_loadcnt 0x1
	s_delay_alu instid0(VALU_DEP_1) | instskip(SKIP_1) | instid1(VALU_DEP_1)
	v_and_b32_e32 v0, v18, v16
	s_wait_loadcnt 0x0
	v_mad_nc_u64_u32 v[14:15], v0, 24, v[20:21]
	s_delay_alu instid0(VALU_DEP_3) | instskip(NEXT) | instid1(VALU_DEP_1)
	v_and_b32_e32 v0, v19, v17
	v_mad_u32 v15, v0, 24, v15
	global_load_b64 v[14:15], v[14:15], off scope:SCOPE_SYS
	s_wait_xcnt 0x0
	s_wait_loadcnt 0x0
	global_atomic_cmpswap_b64 v[14:15], v1, v[14:17], s[8:9] offset:24 th:TH_ATOMIC_RETURN scope:SCOPE_SYS
	s_wait_loadcnt 0x0
	global_inv scope:SCOPE_SYS
	v_cmp_eq_u64_e32 vcc_lo, v[14:15], v[16:17]
	s_or_b32 s13, vcc_lo, s13
	s_wait_xcnt 0x0
	s_and_not1_b32 exec_lo, exec_lo, s13
	s_cbranch_execnz .LBB2_220
; %bb.221:                              ;   in Loop: Header=BB2_4 Depth=1
	s_or_b32 exec_lo, exec_lo, s13
.LBB2_222:                              ;   in Loop: Header=BB2_4 Depth=1
	s_delay_alu instid0(SALU_CYCLE_1)
	s_or_b32 exec_lo, exec_lo, s12
.LBB2_223:                              ;   in Loop: Header=BB2_4 Depth=1
	s_delay_alu instid0(SALU_CYCLE_1)
	s_or_b32 exec_lo, exec_lo, s1
	s_clause 0x1
	global_load_b64 v[20:21], v1, s[8:9] offset:40
	global_load_b128 v[16:19], v1, s[8:9]
	v_readfirstlane_b32 s12, v14
	v_readfirstlane_b32 s13, v15
	s_mov_b32 s1, exec_lo
	s_wait_loadcnt 0x1
	v_and_b32_e32 v14, s12, v20
	v_and_b32_e32 v15, s13, v21
	s_delay_alu instid0(VALU_DEP_1) | instskip(SKIP_1) | instid1(VALU_DEP_1)
	v_mul_u64_e32 v[20:21], 24, v[14:15]
	s_wait_loadcnt 0x0
	v_add_nc_u64_e32 v[20:21], v[16:17], v[20:21]
	s_wait_xcnt 0x0
	s_and_saveexec_b32 s14, s0
	s_cbranch_execz .LBB2_225
; %bb.224:                              ;   in Loop: Header=BB2_4 Depth=1
	v_mov_b32_e32 v0, s1
	global_store_b128 v[20:21], v[0:3], off offset:8
.LBB2_225:                              ;   in Loop: Header=BB2_4 Depth=1
	s_wait_xcnt 0x0
	s_or_b32 exec_lo, exec_lo, s14
	v_lshlrev_b64_e32 v[14:15], 12, v[14:15]
	v_mov_b64_e32 v[24:25], s[6:7]
	v_mov_b64_e32 v[22:23], s[4:5]
	v_and_or_b32 v12, 0xffffff1d, v12, 34
	s_delay_alu instid0(VALU_DEP_4) | instskip(SKIP_1) | instid1(VALU_DEP_2)
	v_add_nc_u64_e32 v[18:19], v[18:19], v[14:15]
	v_dual_mov_b32 v14, v1 :: v_dual_mov_b32 v15, v1
	v_readfirstlane_b32 s14, v18
	s_delay_alu instid0(VALU_DEP_3)
	v_readfirstlane_b32 s15, v19
	s_clause 0x3
	global_store_b128 v36, v[12:15], s[14:15]
	global_store_b128 v36, v[22:25], s[14:15] offset:16
	global_store_b128 v36, v[22:25], s[14:15] offset:32
	;; [unrolled: 1-line block ×3, first 2 shown]
	s_wait_xcnt 0x0
	s_and_saveexec_b32 s1, s0
	s_cbranch_execz .LBB2_233
; %bb.226:                              ;   in Loop: Header=BB2_4 Depth=1
	s_clause 0x1
	global_load_b64 v[24:25], v1, s[8:9] offset:32 scope:SCOPE_SYS
	global_load_b64 v[12:13], v1, s[8:9] offset:40
	s_mov_b32 s14, exec_lo
	v_dual_mov_b32 v22, s12 :: v_dual_mov_b32 v23, s13
	s_wait_loadcnt 0x0
	v_and_b32_e32 v13, s13, v13
	v_and_b32_e32 v12, s12, v12
	s_delay_alu instid0(VALU_DEP_1) | instskip(NEXT) | instid1(VALU_DEP_1)
	v_mul_u64_e32 v[12:13], 24, v[12:13]
	v_add_nc_u64_e32 v[16:17], v[16:17], v[12:13]
	global_store_b64 v[16:17], v[24:25], off
	global_wb scope:SCOPE_SYS
	s_wait_storecnt 0x0
	s_wait_xcnt 0x0
	global_atomic_cmpswap_b64 v[14:15], v1, v[22:25], s[8:9] offset:32 th:TH_ATOMIC_RETURN scope:SCOPE_SYS
	s_wait_loadcnt 0x0
	v_cmpx_ne_u64_e64 v[14:15], v[24:25]
	s_cbranch_execz .LBB2_229
; %bb.227:                              ;   in Loop: Header=BB2_4 Depth=1
	s_mov_b32 s15, 0
.LBB2_228:                              ;   Parent Loop BB2_4 Depth=1
                                        ; =>  This Inner Loop Header: Depth=2
	v_dual_mov_b32 v12, s12 :: v_dual_mov_b32 v13, s13
	s_sleep 1
	global_store_b64 v[16:17], v[14:15], off
	global_wb scope:SCOPE_SYS
	s_wait_storecnt 0x0
	s_wait_xcnt 0x0
	global_atomic_cmpswap_b64 v[12:13], v1, v[12:15], s[8:9] offset:32 th:TH_ATOMIC_RETURN scope:SCOPE_SYS
	s_wait_loadcnt 0x0
	v_cmp_eq_u64_e32 vcc_lo, v[12:13], v[14:15]
	v_mov_b64_e32 v[14:15], v[12:13]
	s_or_b32 s15, vcc_lo, s15
	s_delay_alu instid0(SALU_CYCLE_1)
	s_and_not1_b32 exec_lo, exec_lo, s15
	s_cbranch_execnz .LBB2_228
.LBB2_229:                              ;   in Loop: Header=BB2_4 Depth=1
	s_or_b32 exec_lo, exec_lo, s14
	global_load_b64 v[12:13], v1, s[8:9] offset:16
	s_mov_b32 s15, exec_lo
	s_mov_b32 s14, exec_lo
	v_mbcnt_lo_u32_b32 v0, s15, 0
	s_wait_xcnt 0x0
	s_delay_alu instid0(VALU_DEP_1)
	v_cmpx_eq_u32_e32 0, v0
	s_cbranch_execz .LBB2_231
; %bb.230:                              ;   in Loop: Header=BB2_4 Depth=1
	s_bcnt1_i32_b32 s15, s15
	s_delay_alu instid0(SALU_CYCLE_1)
	v_mov_b32_e32 v0, s15
	global_wb scope:SCOPE_SYS
	s_wait_loadcnt 0x0
	s_wait_storecnt 0x0
	global_atomic_add_u64 v[12:13], v[0:1], off offset:8 scope:SCOPE_SYS
.LBB2_231:                              ;   in Loop: Header=BB2_4 Depth=1
	s_wait_xcnt 0x0
	s_or_b32 exec_lo, exec_lo, s14
	s_wait_loadcnt 0x0
	global_load_b64 v[14:15], v[12:13], off offset:16
	s_wait_loadcnt 0x0
	v_cmp_eq_u64_e32 vcc_lo, 0, v[14:15]
	s_cbranch_vccnz .LBB2_233
; %bb.232:                              ;   in Loop: Header=BB2_4 Depth=1
	global_load_b32 v0, v[12:13], off offset:24
	s_wait_loadcnt 0x0
	v_readfirstlane_b32 s14, v0
	global_wb scope:SCOPE_SYS
	s_wait_storecnt 0x0
	s_wait_xcnt 0x0
	global_store_b64 v[14:15], v[0:1], off scope:SCOPE_SYS
	s_and_b32 m0, s14, 0xffffff
	s_sendmsg sendmsg(MSG_INTERRUPT)
.LBB2_233:                              ;   in Loop: Header=BB2_4 Depth=1
	s_wait_xcnt 0x0
	s_or_b32 exec_lo, exec_lo, s1
	s_branch .LBB2_237
.LBB2_234:                              ;   in Loop: Header=BB2_237 Depth=2
	s_wait_xcnt 0x0
	s_or_b32 exec_lo, exec_lo, s1
	s_delay_alu instid0(VALU_DEP_1)
	v_readfirstlane_b32 s1, v0
	s_cmp_eq_u32 s1, 0
	s_cbranch_scc1 .LBB2_236
; %bb.235:                              ;   in Loop: Header=BB2_237 Depth=2
	s_sleep 1
	s_cbranch_execnz .LBB2_237
	s_branch .LBB2_239
.LBB2_236:                              ;   in Loop: Header=BB2_4 Depth=1
	s_branch .LBB2_239
.LBB2_237:                              ;   Parent Loop BB2_4 Depth=1
                                        ; =>  This Inner Loop Header: Depth=2
	v_mov_b32_e32 v0, 1
	s_and_saveexec_b32 s1, s0
	s_cbranch_execz .LBB2_234
; %bb.238:                              ;   in Loop: Header=BB2_237 Depth=2
	global_load_b32 v0, v[20:21], off offset:20 scope:SCOPE_SYS
	s_wait_loadcnt 0x0
	global_inv scope:SCOPE_SYS
	v_and_b32_e32 v0, 1, v0
	s_branch .LBB2_234
.LBB2_239:                              ;   in Loop: Header=BB2_4 Depth=1
	s_and_saveexec_b32 s14, s0
	s_cbranch_execz .LBB2_2
; %bb.240:                              ;   in Loop: Header=BB2_4 Depth=1
	s_clause 0x2
	global_load_b64 v[12:13], v1, s[8:9] offset:40
	global_load_b64 v[20:21], v1, s[8:9] offset:24 scope:SCOPE_SYS
	global_load_b64 v[14:15], v1, s[8:9]
	s_wait_loadcnt 0x2
	v_readfirstlane_b32 s16, v12
	v_readfirstlane_b32 s17, v13
	s_add_nc_u64 s[0:1], s[16:17], 1
	s_delay_alu instid0(SALU_CYCLE_1) | instskip(NEXT) | instid1(SALU_CYCLE_1)
	s_add_nc_u64 s[12:13], s[0:1], s[12:13]
	s_cmp_eq_u64 s[12:13], 0
	s_cselect_b32 s1, s1, s13
	s_cselect_b32 s0, s0, s12
	s_delay_alu instid0(SALU_CYCLE_1) | instskip(SKIP_1) | instid1(SALU_CYCLE_1)
	v_dual_mov_b32 v19, s1 :: v_dual_mov_b32 v18, s0
	s_and_b64 s[12:13], s[0:1], s[16:17]
	s_mul_u64 s[12:13], s[12:13], 24
	s_wait_loadcnt 0x0
	v_add_nc_u64_e32 v[16:17], s[12:13], v[14:15]
	global_store_b64 v[16:17], v[20:21], off
	global_wb scope:SCOPE_SYS
	s_wait_storecnt 0x0
	s_wait_xcnt 0x0
	global_atomic_cmpswap_b64 v[14:15], v1, v[18:21], s[8:9] offset:24 th:TH_ATOMIC_RETURN scope:SCOPE_SYS
	s_wait_loadcnt 0x0
	v_cmp_ne_u64_e32 vcc_lo, v[14:15], v[20:21]
	s_and_b32 exec_lo, exec_lo, vcc_lo
	s_cbranch_execz .LBB2_2
; %bb.241:                              ;   in Loop: Header=BB2_4 Depth=1
	s_mov_b32 s12, 0
.LBB2_242:                              ;   Parent Loop BB2_4 Depth=1
                                        ; =>  This Inner Loop Header: Depth=2
	v_dual_mov_b32 v12, s0 :: v_dual_mov_b32 v13, s1
	s_sleep 1
	global_store_b64 v[16:17], v[14:15], off
	global_wb scope:SCOPE_SYS
	s_wait_storecnt 0x0
	s_wait_xcnt 0x0
	global_atomic_cmpswap_b64 v[12:13], v1, v[12:15], s[8:9] offset:24 th:TH_ATOMIC_RETURN scope:SCOPE_SYS
	s_wait_loadcnt 0x0
	v_cmp_eq_u64_e32 vcc_lo, v[12:13], v[14:15]
	v_mov_b64_e32 v[14:15], v[12:13]
	s_or_b32 s12, vcc_lo, s12
	s_delay_alu instid0(SALU_CYCLE_1)
	s_and_not1_b32 exec_lo, exec_lo, s12
	s_cbranch_execnz .LBB2_242
	s_branch .LBB2_2
.LBB2_243:
	s_endpgm
	.section	.rodata,"a",@progbits
	.p2align	6, 0x0
	.amdhsa_kernel _ZN19hipPrintfStressTest35kernel_printf_single_conditionalstrEj
		.amdhsa_group_segment_fixed_size 0
		.amdhsa_private_segment_fixed_size 0
		.amdhsa_kernarg_size 264
		.amdhsa_user_sgpr_count 2
		.amdhsa_user_sgpr_dispatch_ptr 0
		.amdhsa_user_sgpr_queue_ptr 0
		.amdhsa_user_sgpr_kernarg_segment_ptr 1
		.amdhsa_user_sgpr_dispatch_id 0
		.amdhsa_user_sgpr_kernarg_preload_length 0
		.amdhsa_user_sgpr_kernarg_preload_offset 0
		.amdhsa_user_sgpr_private_segment_size 0
		.amdhsa_wavefront_size32 1
		.amdhsa_uses_dynamic_stack 0
		.amdhsa_enable_private_segment 0
		.amdhsa_system_sgpr_workgroup_id_x 1
		.amdhsa_system_sgpr_workgroup_id_y 0
		.amdhsa_system_sgpr_workgroup_id_z 0
		.amdhsa_system_sgpr_workgroup_info 0
		.amdhsa_system_vgpr_workitem_id 0
		.amdhsa_next_free_vgpr 46
		.amdhsa_next_free_sgpr 30
		.amdhsa_named_barrier_count 0
		.amdhsa_reserve_vcc 1
		.amdhsa_float_round_mode_32 0
		.amdhsa_float_round_mode_16_64 0
		.amdhsa_float_denorm_mode_32 3
		.amdhsa_float_denorm_mode_16_64 3
		.amdhsa_fp16_overflow 0
		.amdhsa_memory_ordered 1
		.amdhsa_forward_progress 1
		.amdhsa_inst_pref_size 74
		.amdhsa_round_robin_scheduling 0
		.amdhsa_exception_fp_ieee_invalid_op 0
		.amdhsa_exception_fp_denorm_src 0
		.amdhsa_exception_fp_ieee_div_zero 0
		.amdhsa_exception_fp_ieee_overflow 0
		.amdhsa_exception_fp_ieee_underflow 0
		.amdhsa_exception_fp_ieee_inexact 0
		.amdhsa_exception_int_div_zero 0
	.end_amdhsa_kernel
	.text
.Lfunc_end2:
	.size	_ZN19hipPrintfStressTest35kernel_printf_single_conditionalstrEj, .Lfunc_end2-_ZN19hipPrintfStressTest35kernel_printf_single_conditionalstrEj
                                        ; -- End function
	.set _ZN19hipPrintfStressTest35kernel_printf_single_conditionalstrEj.num_vgpr, 46
	.set _ZN19hipPrintfStressTest35kernel_printf_single_conditionalstrEj.num_agpr, 0
	.set _ZN19hipPrintfStressTest35kernel_printf_single_conditionalstrEj.numbered_sgpr, 30
	.set _ZN19hipPrintfStressTest35kernel_printf_single_conditionalstrEj.num_named_barrier, 0
	.set _ZN19hipPrintfStressTest35kernel_printf_single_conditionalstrEj.private_seg_size, 0
	.set _ZN19hipPrintfStressTest35kernel_printf_single_conditionalstrEj.uses_vcc, 1
	.set _ZN19hipPrintfStressTest35kernel_printf_single_conditionalstrEj.uses_flat_scratch, 0
	.set _ZN19hipPrintfStressTest35kernel_printf_single_conditionalstrEj.has_dyn_sized_stack, 0
	.set _ZN19hipPrintfStressTest35kernel_printf_single_conditionalstrEj.has_recursion, 0
	.set _ZN19hipPrintfStressTest35kernel_printf_single_conditionalstrEj.has_indirect_call, 0
	.section	.AMDGPU.csdata,"",@progbits
; Kernel info:
; codeLenInByte = 9352
; TotalNumSgprs: 32
; NumVgprs: 46
; ScratchSize: 0
; MemoryBound: 0
; FloatMode: 240
; IeeeMode: 1
; LDSByteSize: 0 bytes/workgroup (compile time only)
; SGPRBlocks: 0
; VGPRBlocks: 2
; NumSGPRsForWavesPerEU: 32
; NumVGPRsForWavesPerEU: 46
; NamedBarCnt: 0
; Occupancy: 16
; WaveLimiterHint : 1
; COMPUTE_PGM_RSRC2:SCRATCH_EN: 0
; COMPUTE_PGM_RSRC2:USER_SGPR: 2
; COMPUTE_PGM_RSRC2:TRAP_HANDLER: 0
; COMPUTE_PGM_RSRC2:TGID_X_EN: 1
; COMPUTE_PGM_RSRC2:TGID_Y_EN: 0
; COMPUTE_PGM_RSRC2:TGID_Z_EN: 0
; COMPUTE_PGM_RSRC2:TIDIG_COMP_CNT: 0
	.text
	.protected	_ZN19hipPrintfStressTest25kernel_printf_variablestrEjPi ; -- Begin function _ZN19hipPrintfStressTest25kernel_printf_variablestrEjPi
	.globl	_ZN19hipPrintfStressTest25kernel_printf_variablestrEjPi
	.p2align	8
	.type	_ZN19hipPrintfStressTest25kernel_printf_variablestrEjPi,@function
_ZN19hipPrintfStressTest25kernel_printf_variablestrEjPi: ; @_ZN19hipPrintfStressTest25kernel_printf_variablestrEjPi
; %bb.0:
	s_clause 0x1
	s_load_b32 s2, s[0:1], 0x1c
	s_load_b32 s24, s[0:1], 0x0
	s_bfe_u32 s3, ttmp6, 0x4000c
	s_and_b32 s4, ttmp6, 15
	s_add_co_i32 s3, s3, 1
	s_getreg_b32 s5, hwreg(HW_REG_IB_STS2, 6, 4)
	s_mul_i32 s3, ttmp9, s3
	s_delay_alu instid0(SALU_CYCLE_1)
	s_add_co_i32 s4, s4, s3
	s_wait_kmcnt 0x0
	s_and_b32 s2, s2, 0xffff
	s_cmp_eq_u32 s5, 0
	s_cselect_b32 s3, ttmp9, s4
	s_cmp_gt_i32 s24, 0
	v_mad_u32 v38, s3, s2, v0
	s_mov_b32 s2, 0
	s_cbranch_scc1 .LBB3_2
; %bb.1:
	v_dual_mov_b32 v39, 0 :: v_dual_mov_b32 v41, 0
	s_and_not1_b32 vcc_lo, exec_lo, s2
	s_cbranch_vccz .LBB3_3
	s_branch .LBB3_1173
.LBB3_2:
	v_mov_b32_e32 v41, 0
.LBB3_3:
	s_add_nc_u64 s[2:3], s[0:1], 16
	v_mbcnt_lo_u32_b32 v40, -1, 0
	s_load_b64 s[10:11], s[2:3], 0x50
	s_mov_b32 s4, 0
	v_mov_b32_e32 v1, 0
	s_mov_b32 s6, s4
	v_lshlrev_b32_e32 v42, 6, v40
	s_mov_b32 s7, s4
	s_mov_b32 s5, s4
	s_get_pc_i64 s[8:9]
	s_add_nc_u64 s[8:9], s[8:9], .str.5@rel64+4
	v_mov_b64_e32 v[14:15], s[6:7]
	v_mov_b64_e32 v[2:3], 0x100000002
	;; [unrolled: 1-line block ×3, first 2 shown]
	s_get_pc_i64 s[12:13]
	s_add_nc_u64 s[12:13], s[12:13], .str.4@rel64+4
	s_cmp_lg_u64 s[8:9], 0
	v_dual_mov_b32 v39, v1 :: v_dual_mov_b32 v44, v42
	v_dual_mov_b32 v45, v1 :: v_dual_mov_b32 v4, 33
	;; [unrolled: 1-line block ×4, first 2 shown]
	v_mov_b32_e32 v41, v1
	s_cselect_b32 s25, -1, 0
	s_cmp_lg_u64 s[12:13], 0
	s_mov_b32 s27, s4
	s_cselect_b32 s26, -1, 0
	s_branch .LBB3_5
.LBB3_4:                                ;   in Loop: Header=BB3_5 Depth=1
	s_or_b32 exec_lo, exec_lo, s16
	v_add3_u32 v0, v41, v46, v48
	s_add_co_i32 s27, s27, 1
	s_delay_alu instid0(SALU_CYCLE_1) | instskip(SKIP_1) | instid1(VALU_DEP_1)
	s_cmp_eq_u32 s27, s24
	s_wait_loadcnt 0x0
	v_add3_u32 v41, v0, v50, v6
	s_cbranch_scc1 .LBB3_1173
.LBB3_5:                                ; =>This Loop Header: Depth=1
                                        ;     Child Loop BB3_8 Depth 2
                                        ;     Child Loop BB3_16 Depth 2
                                        ;     Child Loop BB3_25 Depth 2
                                        ;     Child Loop BB3_30 Depth 2
                                        ;     Child Loop BB3_193 Depth 2
                                        ;     Child Loop BB3_201 Depth 2
                                        ;     Child Loop BB3_210 Depth 2
                                        ;     Child Loop BB3_215 Depth 2
                                        ;     Child Loop BB3_34 Depth 2
                                        ;       Child Loop BB3_37 Depth 3
                                        ;       Child Loop BB3_44 Depth 3
                                        ;       Child Loop BB3_51 Depth 3
                                        ;       Child Loop BB3_58 Depth 3
                                        ;       Child Loop BB3_65 Depth 3
                                        ;       Child Loop BB3_72 Depth 3
                                        ;       Child Loop BB3_79 Depth 3
                                        ;       Child Loop BB3_86 Depth 3
                                        ;       Child Loop BB3_94 Depth 3
                                        ;       Child Loop BB3_103 Depth 3
                                        ;       Child Loop BB3_108 Depth 3
                                        ;     Child Loop BB3_221 Depth 2
                                        ;     Child Loop BB3_229 Depth 2
                                        ;     Child Loop BB3_238 Depth 2
                                        ;     Child Loop BB3_243 Depth 2
                                        ;     Child Loop BB3_113 Depth 2
                                        ;       Child Loop BB3_116 Depth 3
                                        ;       Child Loop BB3_123 Depth 3
                                        ;       Child Loop BB3_130 Depth 3
                                        ;       Child Loop BB3_137 Depth 3
                                        ;       Child Loop BB3_144 Depth 3
                                        ;       Child Loop BB3_151 Depth 3
                                        ;       Child Loop BB3_158 Depth 3
                                        ;       Child Loop BB3_165 Depth 3
                                        ;       Child Loop BB3_173 Depth 3
                                        ;       Child Loop BB3_182 Depth 3
                                        ;       Child Loop BB3_187 Depth 3
                                        ;     Child Loop BB3_248 Depth 2
                                        ;     Child Loop BB3_256 Depth 2
                                        ;     Child Loop BB3_265 Depth 2
                                        ;     Child Loop BB3_270 Depth 2
                                        ;     Child Loop BB3_274 Depth 2
                                        ;     Child Loop BB3_282 Depth 2
                                        ;     Child Loop BB3_291 Depth 2
                                        ;     Child Loop BB3_296 Depth 2
                                        ;     Child Loop BB3_300 Depth 2
                                        ;     Child Loop BB3_308 Depth 2
                                        ;     Child Loop BB3_317 Depth 2
                                        ;     Child Loop BB3_322 Depth 2
                                        ;     Child Loop BB3_485 Depth 2
                                        ;     Child Loop BB3_493 Depth 2
                                        ;     Child Loop BB3_502 Depth 2
                                        ;     Child Loop BB3_507 Depth 2
                                        ;     Child Loop BB3_326 Depth 2
                                        ;       Child Loop BB3_329 Depth 3
                                        ;       Child Loop BB3_336 Depth 3
                                        ;       Child Loop BB3_343 Depth 3
                                        ;       Child Loop BB3_350 Depth 3
                                        ;       Child Loop BB3_357 Depth 3
                                        ;       Child Loop BB3_364 Depth 3
                                        ;       Child Loop BB3_371 Depth 3
                                        ;       Child Loop BB3_378 Depth 3
                                        ;       Child Loop BB3_386 Depth 3
                                        ;       Child Loop BB3_395 Depth 3
                                        ;       Child Loop BB3_400 Depth 3
                                        ;     Child Loop BB3_513 Depth 2
                                        ;     Child Loop BB3_521 Depth 2
                                        ;     Child Loop BB3_530 Depth 2
                                        ;     Child Loop BB3_535 Depth 2
                                        ;     Child Loop BB3_405 Depth 2
                                        ;       Child Loop BB3_408 Depth 3
                                        ;       Child Loop BB3_415 Depth 3
                                        ;       Child Loop BB3_422 Depth 3
                                        ;       Child Loop BB3_429 Depth 3
                                        ;       Child Loop BB3_436 Depth 3
                                        ;       Child Loop BB3_443 Depth 3
                                        ;       Child Loop BB3_450 Depth 3
                                        ;       Child Loop BB3_457 Depth 3
                                        ;       Child Loop BB3_465 Depth 3
                                        ;       Child Loop BB3_474 Depth 3
                                        ;       Child Loop BB3_479 Depth 3
                                        ;     Child Loop BB3_540 Depth 2
                                        ;     Child Loop BB3_548 Depth 2
                                        ;     Child Loop BB3_557 Depth 2
                                        ;     Child Loop BB3_562 Depth 2
                                        ;     Child Loop BB3_566 Depth 2
                                        ;     Child Loop BB3_574 Depth 2
                                        ;     Child Loop BB3_583 Depth 2
                                        ;     Child Loop BB3_588 Depth 2
	;; [unrolled: 44-line block ×4, first 2 shown]
	s_wait_xcnt 0x0
	v_readfirstlane_b32 s2, v40
	v_mov_b64_e32 v[6:7], 0
	s_delay_alu instid0(VALU_DEP_2)
	v_cmp_eq_u32_e64 s2, s2, v40
	s_and_saveexec_b32 s3, s2
	s_cbranch_execz .LBB3_11
; %bb.6:                                ;   in Loop: Header=BB3_5 Depth=1
	s_wait_kmcnt 0x0
	global_load_b64 v[18:19], v1, s[10:11] offset:24 scope:SCOPE_SYS
	s_wait_loadcnt 0x0
	global_inv scope:SCOPE_SYS
	s_clause 0x1
	global_load_b64 v[6:7], v1, s[10:11] offset:40
	global_load_b64 v[16:17], v1, s[10:11]
	s_mov_b32 s14, exec_lo
	s_wait_loadcnt 0x1
	v_and_b32_e32 v6, v6, v18
	v_and_b32_e32 v7, v7, v19
	s_delay_alu instid0(VALU_DEP_1) | instskip(SKIP_1) | instid1(VALU_DEP_1)
	v_mul_u64_e32 v[6:7], 24, v[6:7]
	s_wait_loadcnt 0x0
	v_add_nc_u64_e32 v[6:7], v[16:17], v[6:7]
	global_load_b64 v[16:17], v[6:7], off scope:SCOPE_SYS
	s_wait_xcnt 0x0
	s_wait_loadcnt 0x0
	global_atomic_cmpswap_b64 v[6:7], v1, v[16:19], s[10:11] offset:24 th:TH_ATOMIC_RETURN scope:SCOPE_SYS
	s_wait_loadcnt 0x0
	global_inv scope:SCOPE_SYS
	s_wait_xcnt 0x0
	v_cmpx_ne_u64_e64 v[6:7], v[18:19]
	s_cbranch_execz .LBB3_10
; %bb.7:                                ;   in Loop: Header=BB3_5 Depth=1
	s_mov_b32 s15, 0
.LBB3_8:                                ;   Parent Loop BB3_5 Depth=1
                                        ; =>  This Inner Loop Header: Depth=2
	s_sleep 1
	s_clause 0x1
	global_load_b64 v[16:17], v1, s[10:11] offset:40
	global_load_b64 v[20:21], v1, s[10:11]
	v_mov_b64_e32 v[18:19], v[6:7]
	s_wait_loadcnt 0x1
	s_delay_alu instid0(VALU_DEP_1) | instskip(SKIP_1) | instid1(VALU_DEP_1)
	v_and_b32_e32 v0, v16, v18
	s_wait_loadcnt 0x0
	v_mad_nc_u64_u32 v[6:7], v0, 24, v[20:21]
	s_delay_alu instid0(VALU_DEP_3) | instskip(NEXT) | instid1(VALU_DEP_1)
	v_and_b32_e32 v0, v17, v19
	v_mad_u32 v7, v0, 24, v7
	global_load_b64 v[16:17], v[6:7], off scope:SCOPE_SYS
	s_wait_xcnt 0x0
	s_wait_loadcnt 0x0
	global_atomic_cmpswap_b64 v[6:7], v1, v[16:19], s[10:11] offset:24 th:TH_ATOMIC_RETURN scope:SCOPE_SYS
	s_wait_loadcnt 0x0
	global_inv scope:SCOPE_SYS
	v_cmp_eq_u64_e32 vcc_lo, v[6:7], v[18:19]
	s_or_b32 s15, vcc_lo, s15
	s_wait_xcnt 0x0
	s_and_not1_b32 exec_lo, exec_lo, s15
	s_cbranch_execnz .LBB3_8
; %bb.9:                                ;   in Loop: Header=BB3_5 Depth=1
	s_or_b32 exec_lo, exec_lo, s15
.LBB3_10:                               ;   in Loop: Header=BB3_5 Depth=1
	s_delay_alu instid0(SALU_CYCLE_1)
	s_or_b32 exec_lo, exec_lo, s14
.LBB3_11:                               ;   in Loop: Header=BB3_5 Depth=1
	s_delay_alu instid0(SALU_CYCLE_1)
	s_or_b32 exec_lo, exec_lo, s3
	s_wait_kmcnt 0x0
	s_clause 0x1
	global_load_b64 v[20:21], v1, s[10:11] offset:40
	global_load_b128 v[16:19], v1, s[10:11]
	v_readfirstlane_b32 s14, v6
	v_readfirstlane_b32 s15, v7
	s_mov_b32 s3, exec_lo
	s_wait_loadcnt 0x1
	v_and_b32_e32 v20, s14, v20
	v_and_b32_e32 v21, s15, v21
	s_delay_alu instid0(VALU_DEP_1) | instskip(SKIP_1) | instid1(VALU_DEP_1)
	v_mul_u64_e32 v[6:7], 24, v[20:21]
	s_wait_loadcnt 0x0
	v_add_nc_u64_e32 v[6:7], v[16:17], v[6:7]
	s_wait_xcnt 0x0
	s_and_saveexec_b32 s16, s2
	s_cbranch_execz .LBB3_13
; %bb.12:                               ;   in Loop: Header=BB3_5 Depth=1
	v_mov_b32_e32 v0, s3
	global_store_b128 v[6:7], v[0:3], off offset:8
.LBB3_13:                               ;   in Loop: Header=BB3_5 Depth=1
	s_wait_xcnt 0x0
	s_or_b32 exec_lo, exec_lo, s16
	v_lshlrev_b64_e32 v[20:21], 12, v[20:21]
	s_delay_alu instid0(VALU_DEP_1) | instskip(NEXT) | instid1(VALU_DEP_1)
	v_add_nc_u64_e32 v[20:21], v[18:19], v[20:21]
	v_readfirstlane_b32 s16, v20
	s_delay_alu instid0(VALU_DEP_2)
	v_readfirstlane_b32 s17, v21
	s_clause 0x3
	global_store_b128 v42, v[8:11], s[16:17]
	global_store_b128 v42, v[12:15], s[16:17] offset:16
	global_store_b128 v42, v[12:15], s[16:17] offset:32
	;; [unrolled: 1-line block ×3, first 2 shown]
	s_wait_xcnt 0x0
	s_and_saveexec_b32 s3, s2
	s_cbranch_execz .LBB3_21
; %bb.14:                               ;   in Loop: Header=BB3_5 Depth=1
	s_clause 0x1
	global_load_b64 v[26:27], v1, s[10:11] offset:32 scope:SCOPE_SYS
	global_load_b64 v[18:19], v1, s[10:11] offset:40
	s_mov_b32 s16, exec_lo
	v_dual_mov_b32 v24, s14 :: v_dual_mov_b32 v25, s15
	s_wait_loadcnt 0x0
	v_and_b32_e32 v19, s15, v19
	v_and_b32_e32 v18, s14, v18
	s_delay_alu instid0(VALU_DEP_1) | instskip(NEXT) | instid1(VALU_DEP_1)
	v_mul_u64_e32 v[18:19], 24, v[18:19]
	v_add_nc_u64_e32 v[22:23], v[16:17], v[18:19]
	global_store_b64 v[22:23], v[26:27], off
	global_wb scope:SCOPE_SYS
	s_wait_storecnt 0x0
	s_wait_xcnt 0x0
	global_atomic_cmpswap_b64 v[18:19], v1, v[24:27], s[10:11] offset:32 th:TH_ATOMIC_RETURN scope:SCOPE_SYS
	s_wait_loadcnt 0x0
	s_wait_xcnt 0x0
	v_cmpx_ne_u64_e64 v[18:19], v[26:27]
	s_cbranch_execz .LBB3_17
; %bb.15:                               ;   in Loop: Header=BB3_5 Depth=1
	s_mov_b32 s17, 0
.LBB3_16:                               ;   Parent Loop BB3_5 Depth=1
                                        ; =>  This Inner Loop Header: Depth=2
	v_dual_mov_b32 v16, s14 :: v_dual_mov_b32 v17, s15
	s_sleep 1
	global_store_b64 v[22:23], v[18:19], off
	global_wb scope:SCOPE_SYS
	s_wait_storecnt 0x0
	s_wait_xcnt 0x0
	global_atomic_cmpswap_b64 v[16:17], v1, v[16:19], s[10:11] offset:32 th:TH_ATOMIC_RETURN scope:SCOPE_SYS
	s_wait_loadcnt 0x0
	v_cmp_eq_u64_e32 vcc_lo, v[16:17], v[18:19]
	v_mov_b64_e32 v[18:19], v[16:17]
	s_or_b32 s17, vcc_lo, s17
	s_delay_alu instid0(SALU_CYCLE_1)
	s_and_not1_b32 exec_lo, exec_lo, s17
	s_cbranch_execnz .LBB3_16
.LBB3_17:                               ;   in Loop: Header=BB3_5 Depth=1
	s_or_b32 exec_lo, exec_lo, s16
	global_load_b64 v[16:17], v1, s[10:11] offset:16
	s_mov_b32 s17, exec_lo
	s_mov_b32 s16, exec_lo
	v_mbcnt_lo_u32_b32 v0, s17, 0
	s_wait_xcnt 0x0
	s_delay_alu instid0(VALU_DEP_1)
	v_cmpx_eq_u32_e32 0, v0
	s_cbranch_execz .LBB3_19
; %bb.18:                               ;   in Loop: Header=BB3_5 Depth=1
	s_bcnt1_i32_b32 s17, s17
	s_delay_alu instid0(SALU_CYCLE_1)
	v_mov_b32_e32 v0, s17
	global_wb scope:SCOPE_SYS
	s_wait_loadcnt 0x0
	s_wait_storecnt 0x0
	global_atomic_add_u64 v[16:17], v[0:1], off offset:8 scope:SCOPE_SYS
.LBB3_19:                               ;   in Loop: Header=BB3_5 Depth=1
	s_wait_xcnt 0x0
	s_or_b32 exec_lo, exec_lo, s16
	s_wait_loadcnt 0x0
	global_load_b64 v[18:19], v[16:17], off offset:16
	s_wait_loadcnt 0x0
	v_cmp_eq_u64_e32 vcc_lo, 0, v[18:19]
	s_cbranch_vccnz .LBB3_21
; %bb.20:                               ;   in Loop: Header=BB3_5 Depth=1
	global_load_b32 v0, v[16:17], off offset:24
	s_wait_loadcnt 0x0
	v_readfirstlane_b32 s16, v0
	global_wb scope:SCOPE_SYS
	s_wait_storecnt 0x0
	s_wait_xcnt 0x0
	global_store_b64 v[18:19], v[0:1], off scope:SCOPE_SYS
	s_and_b32 m0, s16, 0xffffff
	s_sendmsg sendmsg(MSG_INTERRUPT)
.LBB3_21:                               ;   in Loop: Header=BB3_5 Depth=1
	s_wait_xcnt 0x0
	s_or_b32 exec_lo, exec_lo, s3
	v_add_nc_u64_e32 v[16:17], v[20:21], v[44:45]
	s_branch .LBB3_25
.LBB3_22:                               ;   in Loop: Header=BB3_25 Depth=2
	s_wait_xcnt 0x0
	s_or_b32 exec_lo, exec_lo, s3
	s_delay_alu instid0(VALU_DEP_1)
	v_readfirstlane_b32 s3, v0
	s_cmp_eq_u32 s3, 0
	s_cbranch_scc1 .LBB3_24
; %bb.23:                               ;   in Loop: Header=BB3_25 Depth=2
	s_sleep 1
	s_cbranch_execnz .LBB3_25
	s_branch .LBB3_27
.LBB3_24:                               ;   in Loop: Header=BB3_5 Depth=1
	s_branch .LBB3_27
.LBB3_25:                               ;   Parent Loop BB3_5 Depth=1
                                        ; =>  This Inner Loop Header: Depth=2
	v_mov_b32_e32 v0, 1
	s_and_saveexec_b32 s3, s2
	s_cbranch_execz .LBB3_22
; %bb.26:                               ;   in Loop: Header=BB3_25 Depth=2
	global_load_b32 v0, v[6:7], off offset:20 scope:SCOPE_SYS
	s_wait_loadcnt 0x0
	global_inv scope:SCOPE_SYS
	v_and_b32_e32 v0, 1, v0
	s_branch .LBB3_22
.LBB3_27:                               ;   in Loop: Header=BB3_5 Depth=1
	global_load_b64 v[20:21], v[16:17], off
	s_wait_xcnt 0x0
	s_and_saveexec_b32 s16, s2
	s_cbranch_execz .LBB3_31
; %bb.28:                               ;   in Loop: Header=BB3_5 Depth=1
	s_clause 0x2
	global_load_b64 v[6:7], v1, s[10:11] offset:40
	global_load_b64 v[24:25], v1, s[10:11] offset:24 scope:SCOPE_SYS
	global_load_b64 v[16:17], v1, s[10:11]
	s_wait_loadcnt 0x2
	v_readfirstlane_b32 s18, v6
	v_readfirstlane_b32 s19, v7
	s_add_nc_u64 s[2:3], s[18:19], 1
	s_delay_alu instid0(SALU_CYCLE_1) | instskip(NEXT) | instid1(SALU_CYCLE_1)
	s_add_nc_u64 s[14:15], s[2:3], s[14:15]
	s_cmp_eq_u64 s[14:15], 0
	s_cselect_b32 s3, s3, s15
	s_cselect_b32 s2, s2, s14
	s_delay_alu instid0(SALU_CYCLE_1) | instskip(SKIP_1) | instid1(SALU_CYCLE_1)
	v_dual_mov_b32 v23, s3 :: v_dual_mov_b32 v22, s2
	s_and_b64 s[14:15], s[2:3], s[18:19]
	s_mul_u64 s[14:15], s[14:15], 24
	s_wait_loadcnt 0x0
	v_add_nc_u64_e32 v[6:7], s[14:15], v[16:17]
	global_store_b64 v[6:7], v[24:25], off
	global_wb scope:SCOPE_SYS
	s_wait_storecnt 0x0
	s_wait_xcnt 0x0
	global_atomic_cmpswap_b64 v[18:19], v1, v[22:25], s[10:11] offset:24 th:TH_ATOMIC_RETURN scope:SCOPE_SYS
	s_wait_loadcnt 0x0
	v_cmp_ne_u64_e32 vcc_lo, v[18:19], v[24:25]
	s_wait_xcnt 0x0
	s_and_b32 exec_lo, exec_lo, vcc_lo
	s_cbranch_execz .LBB3_31
; %bb.29:                               ;   in Loop: Header=BB3_5 Depth=1
	s_mov_b32 s14, 0
.LBB3_30:                               ;   Parent Loop BB3_5 Depth=1
                                        ; =>  This Inner Loop Header: Depth=2
	v_dual_mov_b32 v16, s2 :: v_dual_mov_b32 v17, s3
	s_sleep 1
	global_store_b64 v[6:7], v[18:19], off
	global_wb scope:SCOPE_SYS
	s_wait_storecnt 0x0
	s_wait_xcnt 0x0
	global_atomic_cmpswap_b64 v[16:17], v1, v[16:19], s[10:11] offset:24 th:TH_ATOMIC_RETURN scope:SCOPE_SYS
	s_wait_loadcnt 0x0
	v_cmp_eq_u64_e32 vcc_lo, v[16:17], v[18:19]
	s_wait_xcnt 0x0
	v_mov_b64_e32 v[18:19], v[16:17]
	s_or_b32 s14, vcc_lo, s14
	s_delay_alu instid0(SALU_CYCLE_1)
	s_and_not1_b32 exec_lo, exec_lo, s14
	s_cbranch_execnz .LBB3_30
.LBB3_31:                               ;   in Loop: Header=BB3_5 Depth=1
	s_or_b32 exec_lo, exec_lo, s16
	s_delay_alu instid0(SALU_CYCLE_1)
	s_and_b32 vcc_lo, exec_lo, s25
	s_cbranch_vccz .LBB3_189
; %bb.32:                               ;   in Loop: Header=BB3_5 Depth=1
	s_wait_loadcnt 0x0
	v_dual_mov_b32 v17, v21 :: v_dual_bitop2_b32 v6, 2, v20 bitop3:0x40
	v_and_b32_e32 v16, -3, v20
	s_mov_b64 s[14:15], 9
	s_mov_b64 s[16:17], s[8:9]
	s_branch .LBB3_34
.LBB3_33:                               ;   in Loop: Header=BB3_34 Depth=2
	s_or_b32 exec_lo, exec_lo, s22
	s_sub_nc_u64 s[14:15], s[14:15], s[18:19]
	s_add_nc_u64 s[16:17], s[16:17], s[18:19]
	s_cmp_lg_u64 s[14:15], 0
	s_cbranch_scc0 .LBB3_109
.LBB3_34:                               ;   Parent Loop BB3_5 Depth=1
                                        ; =>  This Loop Header: Depth=2
                                        ;       Child Loop BB3_37 Depth 3
                                        ;       Child Loop BB3_44 Depth 3
	;; [unrolled: 1-line block ×11, first 2 shown]
	v_min_u64 v[18:19], s[14:15], 56
	v_cmp_gt_u64_e64 s2, s[14:15], 7
	s_and_b32 vcc_lo, exec_lo, s2
	v_readfirstlane_b32 s18, v18
	v_readfirstlane_b32 s19, v19
	s_cbranch_vccnz .LBB3_39
; %bb.35:                               ;   in Loop: Header=BB3_34 Depth=2
	v_mov_b64_e32 v[18:19], 0
	s_cmp_eq_u64 s[14:15], 0
	s_cbranch_scc1 .LBB3_38
; %bb.36:                               ;   in Loop: Header=BB3_34 Depth=2
	s_mov_b64 s[2:3], 0
	s_mov_b64 s[20:21], 0
.LBB3_37:                               ;   Parent Loop BB3_5 Depth=1
                                        ;     Parent Loop BB3_34 Depth=2
                                        ; =>    This Inner Loop Header: Depth=3
	s_wait_xcnt 0x0
	s_add_nc_u64 s[22:23], s[16:17], s[20:21]
	s_add_nc_u64 s[20:21], s[20:21], 1
	global_load_u8 v0, v1, s[22:23]
	s_cmp_lg_u32 s18, s20
	s_wait_loadcnt 0x0
	v_and_b32_e32 v0, 0xffff, v0
	s_delay_alu instid0(VALU_DEP_1) | instskip(SKIP_1) | instid1(VALU_DEP_1)
	v_lshlrev_b64_e32 v[22:23], s2, v[0:1]
	s_add_nc_u64 s[2:3], s[2:3], 8
	v_or_b32_e32 v18, v22, v18
	s_delay_alu instid0(VALU_DEP_2)
	v_or_b32_e32 v19, v23, v19
	s_cbranch_scc1 .LBB3_37
.LBB3_38:                               ;   in Loop: Header=BB3_34 Depth=2
	s_mov_b64 s[2:3], s[16:17]
	s_mov_b32 s28, 0
	s_cbranch_execz .LBB3_40
	s_branch .LBB3_41
.LBB3_39:                               ;   in Loop: Header=BB3_34 Depth=2
	s_add_nc_u64 s[2:3], s[16:17], 8
	s_mov_b32 s28, 0
.LBB3_40:                               ;   in Loop: Header=BB3_34 Depth=2
	global_load_b64 v[18:19], v1, s[16:17]
	s_add_co_i32 s28, s18, -8
.LBB3_41:                               ;   in Loop: Header=BB3_34 Depth=2
	s_delay_alu instid0(SALU_CYCLE_1)
	s_cmp_gt_u32 s28, 7
	s_cbranch_scc1 .LBB3_46
; %bb.42:                               ;   in Loop: Header=BB3_34 Depth=2
	v_mov_b64_e32 v[22:23], 0
	s_cmp_eq_u32 s28, 0
	s_cbranch_scc1 .LBB3_45
; %bb.43:                               ;   in Loop: Header=BB3_34 Depth=2
	s_mov_b64 s[20:21], 0
	s_wait_xcnt 0x0
	s_mov_b64 s[22:23], 0
.LBB3_44:                               ;   Parent Loop BB3_5 Depth=1
                                        ;     Parent Loop BB3_34 Depth=2
                                        ; =>    This Inner Loop Header: Depth=3
	s_wait_xcnt 0x0
	s_add_nc_u64 s[30:31], s[2:3], s[22:23]
	s_add_nc_u64 s[22:23], s[22:23], 1
	global_load_u8 v0, v1, s[30:31]
	s_cmp_lg_u32 s28, s22
	s_wait_loadcnt 0x0
	v_and_b32_e32 v0, 0xffff, v0
	s_delay_alu instid0(VALU_DEP_1) | instskip(SKIP_1) | instid1(VALU_DEP_1)
	v_lshlrev_b64_e32 v[24:25], s20, v[0:1]
	s_add_nc_u64 s[20:21], s[20:21], 8
	v_or_b32_e32 v22, v24, v22
	s_delay_alu instid0(VALU_DEP_2)
	v_or_b32_e32 v23, v25, v23
	s_cbranch_scc1 .LBB3_44
.LBB3_45:                               ;   in Loop: Header=BB3_34 Depth=2
	s_wait_xcnt 0x0
	s_mov_b64 s[20:21], s[2:3]
	s_mov_b32 s29, 0
	s_cbranch_execz .LBB3_47
	s_branch .LBB3_48
.LBB3_46:                               ;   in Loop: Header=BB3_34 Depth=2
	s_add_nc_u64 s[20:21], s[2:3], 8
	s_wait_xcnt 0x0
                                        ; implicit-def: $vgpr22_vgpr23
	s_mov_b32 s29, 0
.LBB3_47:                               ;   in Loop: Header=BB3_34 Depth=2
	global_load_b64 v[22:23], v1, s[2:3]
	s_add_co_i32 s29, s28, -8
.LBB3_48:                               ;   in Loop: Header=BB3_34 Depth=2
	s_delay_alu instid0(SALU_CYCLE_1)
	s_cmp_gt_u32 s29, 7
	s_cbranch_scc1 .LBB3_53
; %bb.49:                               ;   in Loop: Header=BB3_34 Depth=2
	v_mov_b64_e32 v[24:25], 0
	s_cmp_eq_u32 s29, 0
	s_cbranch_scc1 .LBB3_52
; %bb.50:                               ;   in Loop: Header=BB3_34 Depth=2
	s_wait_xcnt 0x0
	s_mov_b64 s[2:3], 0
	s_mov_b64 s[22:23], 0
.LBB3_51:                               ;   Parent Loop BB3_5 Depth=1
                                        ;     Parent Loop BB3_34 Depth=2
                                        ; =>    This Inner Loop Header: Depth=3
	s_wait_xcnt 0x0
	s_add_nc_u64 s[30:31], s[20:21], s[22:23]
	s_add_nc_u64 s[22:23], s[22:23], 1
	global_load_u8 v0, v1, s[30:31]
	s_cmp_lg_u32 s29, s22
	s_wait_loadcnt 0x0
	v_and_b32_e32 v0, 0xffff, v0
	s_delay_alu instid0(VALU_DEP_1) | instskip(SKIP_1) | instid1(VALU_DEP_1)
	v_lshlrev_b64_e32 v[26:27], s2, v[0:1]
	s_add_nc_u64 s[2:3], s[2:3], 8
	v_or_b32_e32 v24, v26, v24
	s_delay_alu instid0(VALU_DEP_2)
	v_or_b32_e32 v25, v27, v25
	s_cbranch_scc1 .LBB3_51
.LBB3_52:                               ;   in Loop: Header=BB3_34 Depth=2
	s_wait_xcnt 0x0
	s_mov_b64 s[2:3], s[20:21]
	s_mov_b32 s28, 0
	s_cbranch_execz .LBB3_54
	s_branch .LBB3_55
.LBB3_53:                               ;   in Loop: Header=BB3_34 Depth=2
	s_wait_xcnt 0x0
	s_add_nc_u64 s[2:3], s[20:21], 8
	s_mov_b32 s28, 0
.LBB3_54:                               ;   in Loop: Header=BB3_34 Depth=2
	global_load_b64 v[24:25], v1, s[20:21]
	s_add_co_i32 s28, s29, -8
.LBB3_55:                               ;   in Loop: Header=BB3_34 Depth=2
	s_delay_alu instid0(SALU_CYCLE_1)
	s_cmp_gt_u32 s28, 7
	s_cbranch_scc1 .LBB3_60
; %bb.56:                               ;   in Loop: Header=BB3_34 Depth=2
	v_mov_b64_e32 v[26:27], 0
	s_cmp_eq_u32 s28, 0
	s_cbranch_scc1 .LBB3_59
; %bb.57:                               ;   in Loop: Header=BB3_34 Depth=2
	s_wait_xcnt 0x0
	s_mov_b64 s[20:21], 0
	s_mov_b64 s[22:23], 0
.LBB3_58:                               ;   Parent Loop BB3_5 Depth=1
                                        ;     Parent Loop BB3_34 Depth=2
                                        ; =>    This Inner Loop Header: Depth=3
	s_wait_xcnt 0x0
	s_add_nc_u64 s[30:31], s[2:3], s[22:23]
	s_add_nc_u64 s[22:23], s[22:23], 1
	global_load_u8 v0, v1, s[30:31]
	s_cmp_lg_u32 s28, s22
	s_wait_loadcnt 0x0
	v_and_b32_e32 v0, 0xffff, v0
	s_delay_alu instid0(VALU_DEP_1) | instskip(SKIP_1) | instid1(VALU_DEP_1)
	v_lshlrev_b64_e32 v[28:29], s20, v[0:1]
	s_add_nc_u64 s[20:21], s[20:21], 8
	v_or_b32_e32 v26, v28, v26
	s_delay_alu instid0(VALU_DEP_2)
	v_or_b32_e32 v27, v29, v27
	s_cbranch_scc1 .LBB3_58
.LBB3_59:                               ;   in Loop: Header=BB3_34 Depth=2
	s_wait_xcnt 0x0
	s_mov_b64 s[20:21], s[2:3]
	s_mov_b32 s29, 0
	s_cbranch_execz .LBB3_61
	s_branch .LBB3_62
.LBB3_60:                               ;   in Loop: Header=BB3_34 Depth=2
	s_wait_xcnt 0x0
	s_add_nc_u64 s[20:21], s[2:3], 8
                                        ; implicit-def: $vgpr26_vgpr27
	s_mov_b32 s29, 0
.LBB3_61:                               ;   in Loop: Header=BB3_34 Depth=2
	global_load_b64 v[26:27], v1, s[2:3]
	s_add_co_i32 s29, s28, -8
.LBB3_62:                               ;   in Loop: Header=BB3_34 Depth=2
	s_delay_alu instid0(SALU_CYCLE_1)
	s_cmp_gt_u32 s29, 7
	s_cbranch_scc1 .LBB3_67
; %bb.63:                               ;   in Loop: Header=BB3_34 Depth=2
	v_mov_b64_e32 v[28:29], 0
	s_cmp_eq_u32 s29, 0
	s_cbranch_scc1 .LBB3_66
; %bb.64:                               ;   in Loop: Header=BB3_34 Depth=2
	s_wait_xcnt 0x0
	s_mov_b64 s[2:3], 0
	s_mov_b64 s[22:23], 0
.LBB3_65:                               ;   Parent Loop BB3_5 Depth=1
                                        ;     Parent Loop BB3_34 Depth=2
                                        ; =>    This Inner Loop Header: Depth=3
	s_wait_xcnt 0x0
	s_add_nc_u64 s[30:31], s[20:21], s[22:23]
	s_add_nc_u64 s[22:23], s[22:23], 1
	global_load_u8 v0, v1, s[30:31]
	s_cmp_lg_u32 s29, s22
	s_wait_loadcnt 0x0
	v_and_b32_e32 v0, 0xffff, v0
	s_delay_alu instid0(VALU_DEP_1) | instskip(SKIP_1) | instid1(VALU_DEP_1)
	v_lshlrev_b64_e32 v[30:31], s2, v[0:1]
	s_add_nc_u64 s[2:3], s[2:3], 8
	v_or_b32_e32 v28, v30, v28
	s_delay_alu instid0(VALU_DEP_2)
	v_or_b32_e32 v29, v31, v29
	s_cbranch_scc1 .LBB3_65
.LBB3_66:                               ;   in Loop: Header=BB3_34 Depth=2
	s_wait_xcnt 0x0
	s_mov_b64 s[2:3], s[20:21]
	s_mov_b32 s28, 0
	s_cbranch_execz .LBB3_68
	s_branch .LBB3_69
.LBB3_67:                               ;   in Loop: Header=BB3_34 Depth=2
	s_wait_xcnt 0x0
	s_add_nc_u64 s[2:3], s[20:21], 8
	s_mov_b32 s28, 0
.LBB3_68:                               ;   in Loop: Header=BB3_34 Depth=2
	global_load_b64 v[28:29], v1, s[20:21]
	s_add_co_i32 s28, s29, -8
.LBB3_69:                               ;   in Loop: Header=BB3_34 Depth=2
	s_delay_alu instid0(SALU_CYCLE_1)
	s_cmp_gt_u32 s28, 7
	s_cbranch_scc1 .LBB3_74
; %bb.70:                               ;   in Loop: Header=BB3_34 Depth=2
	v_mov_b64_e32 v[30:31], 0
	s_cmp_eq_u32 s28, 0
	s_cbranch_scc1 .LBB3_73
; %bb.71:                               ;   in Loop: Header=BB3_34 Depth=2
	s_wait_xcnt 0x0
	s_mov_b64 s[20:21], 0
	s_mov_b64 s[22:23], 0
.LBB3_72:                               ;   Parent Loop BB3_5 Depth=1
                                        ;     Parent Loop BB3_34 Depth=2
                                        ; =>    This Inner Loop Header: Depth=3
	s_wait_xcnt 0x0
	s_add_nc_u64 s[30:31], s[2:3], s[22:23]
	s_add_nc_u64 s[22:23], s[22:23], 1
	global_load_u8 v0, v1, s[30:31]
	s_cmp_lg_u32 s28, s22
	s_wait_loadcnt 0x0
	v_and_b32_e32 v0, 0xffff, v0
	s_delay_alu instid0(VALU_DEP_1) | instskip(SKIP_1) | instid1(VALU_DEP_1)
	v_lshlrev_b64_e32 v[32:33], s20, v[0:1]
	s_add_nc_u64 s[20:21], s[20:21], 8
	v_or_b32_e32 v30, v32, v30
	s_delay_alu instid0(VALU_DEP_2)
	v_or_b32_e32 v31, v33, v31
	s_cbranch_scc1 .LBB3_72
.LBB3_73:                               ;   in Loop: Header=BB3_34 Depth=2
	s_wait_xcnt 0x0
	s_mov_b64 s[20:21], s[2:3]
	s_mov_b32 s29, 0
	s_cbranch_execz .LBB3_75
	s_branch .LBB3_76
.LBB3_74:                               ;   in Loop: Header=BB3_34 Depth=2
	s_wait_xcnt 0x0
	s_add_nc_u64 s[20:21], s[2:3], 8
                                        ; implicit-def: $vgpr30_vgpr31
	s_mov_b32 s29, 0
.LBB3_75:                               ;   in Loop: Header=BB3_34 Depth=2
	global_load_b64 v[30:31], v1, s[2:3]
	s_add_co_i32 s29, s28, -8
.LBB3_76:                               ;   in Loop: Header=BB3_34 Depth=2
	s_delay_alu instid0(SALU_CYCLE_1)
	s_cmp_gt_u32 s29, 7
	s_cbranch_scc1 .LBB3_81
; %bb.77:                               ;   in Loop: Header=BB3_34 Depth=2
	v_mov_b64_e32 v[32:33], 0
	s_cmp_eq_u32 s29, 0
	s_cbranch_scc1 .LBB3_80
; %bb.78:                               ;   in Loop: Header=BB3_34 Depth=2
	s_wait_xcnt 0x0
	s_mov_b64 s[2:3], 0
	s_mov_b64 s[22:23], s[20:21]
.LBB3_79:                               ;   Parent Loop BB3_5 Depth=1
                                        ;     Parent Loop BB3_34 Depth=2
                                        ; =>    This Inner Loop Header: Depth=3
	global_load_u8 v0, v1, s[22:23]
	s_add_co_i32 s29, s29, -1
	s_wait_xcnt 0x0
	s_add_nc_u64 s[22:23], s[22:23], 1
	s_cmp_lg_u32 s29, 0
	s_wait_loadcnt 0x0
	v_and_b32_e32 v0, 0xffff, v0
	s_delay_alu instid0(VALU_DEP_1) | instskip(SKIP_1) | instid1(VALU_DEP_1)
	v_lshlrev_b64_e32 v[34:35], s2, v[0:1]
	s_add_nc_u64 s[2:3], s[2:3], 8
	v_or_b32_e32 v32, v34, v32
	s_delay_alu instid0(VALU_DEP_2)
	v_or_b32_e32 v33, v35, v33
	s_cbranch_scc1 .LBB3_79
.LBB3_80:                               ;   in Loop: Header=BB3_34 Depth=2
	s_wait_xcnt 0x0
	s_cbranch_execz .LBB3_82
	s_branch .LBB3_83
.LBB3_81:                               ;   in Loop: Header=BB3_34 Depth=2
	s_wait_xcnt 0x0
.LBB3_82:                               ;   in Loop: Header=BB3_34 Depth=2
	global_load_b64 v[32:33], v1, s[20:21]
.LBB3_83:                               ;   in Loop: Header=BB3_34 Depth=2
	v_readfirstlane_b32 s2, v40
	v_mov_b64_e32 v[46:47], 0
	s_delay_alu instid0(VALU_DEP_2)
	v_cmp_eq_u32_e64 s2, s2, v40
	s_wait_xcnt 0x0
	s_and_saveexec_b32 s3, s2
	s_cbranch_execz .LBB3_89
; %bb.84:                               ;   in Loop: Header=BB3_34 Depth=2
	global_load_b64 v[36:37], v1, s[10:11] offset:24 scope:SCOPE_SYS
	s_wait_loadcnt 0x0
	global_inv scope:SCOPE_SYS
	s_clause 0x1
	global_load_b64 v[34:35], v1, s[10:11] offset:40
	global_load_b64 v[46:47], v1, s[10:11]
	s_mov_b32 s20, exec_lo
	s_wait_loadcnt 0x1
	v_and_b32_e32 v34, v34, v36
	v_and_b32_e32 v35, v35, v37
	s_delay_alu instid0(VALU_DEP_1) | instskip(SKIP_1) | instid1(VALU_DEP_1)
	v_mul_u64_e32 v[34:35], 24, v[34:35]
	s_wait_loadcnt 0x0
	v_add_nc_u64_e32 v[34:35], v[46:47], v[34:35]
	global_load_b64 v[34:35], v[34:35], off scope:SCOPE_SYS
	s_wait_xcnt 0x0
	s_wait_loadcnt 0x0
	global_atomic_cmpswap_b64 v[46:47], v1, v[34:37], s[10:11] offset:24 th:TH_ATOMIC_RETURN scope:SCOPE_SYS
	s_wait_loadcnt 0x0
	global_inv scope:SCOPE_SYS
	s_wait_xcnt 0x0
	v_cmpx_ne_u64_e64 v[46:47], v[36:37]
	s_cbranch_execz .LBB3_88
; %bb.85:                               ;   in Loop: Header=BB3_34 Depth=2
	s_mov_b32 s21, 0
.LBB3_86:                               ;   Parent Loop BB3_5 Depth=1
                                        ;     Parent Loop BB3_34 Depth=2
                                        ; =>    This Inner Loop Header: Depth=3
	s_sleep 1
	s_clause 0x1
	global_load_b64 v[34:35], v1, s[10:11] offset:40
	global_load_b64 v[48:49], v1, s[10:11]
	v_mov_b64_e32 v[36:37], v[46:47]
	s_wait_loadcnt 0x1
	s_delay_alu instid0(VALU_DEP_1) | instskip(SKIP_1) | instid1(VALU_DEP_1)
	v_and_b32_e32 v0, v34, v36
	s_wait_loadcnt 0x0
	v_mad_nc_u64_u32 v[46:47], v0, 24, v[48:49]
	s_delay_alu instid0(VALU_DEP_3) | instskip(NEXT) | instid1(VALU_DEP_1)
	v_and_b32_e32 v0, v35, v37
	v_mad_u32 v47, v0, 24, v47
	global_load_b64 v[34:35], v[46:47], off scope:SCOPE_SYS
	s_wait_xcnt 0x0
	s_wait_loadcnt 0x0
	global_atomic_cmpswap_b64 v[46:47], v1, v[34:37], s[10:11] offset:24 th:TH_ATOMIC_RETURN scope:SCOPE_SYS
	s_wait_loadcnt 0x0
	global_inv scope:SCOPE_SYS
	v_cmp_eq_u64_e32 vcc_lo, v[46:47], v[36:37]
	s_or_b32 s21, vcc_lo, s21
	s_wait_xcnt 0x0
	s_and_not1_b32 exec_lo, exec_lo, s21
	s_cbranch_execnz .LBB3_86
; %bb.87:                               ;   in Loop: Header=BB3_34 Depth=2
	s_or_b32 exec_lo, exec_lo, s21
.LBB3_88:                               ;   in Loop: Header=BB3_34 Depth=2
	s_delay_alu instid0(SALU_CYCLE_1)
	s_or_b32 exec_lo, exec_lo, s20
.LBB3_89:                               ;   in Loop: Header=BB3_34 Depth=2
	s_delay_alu instid0(SALU_CYCLE_1)
	s_or_b32 exec_lo, exec_lo, s3
	s_clause 0x1
	global_load_b64 v[48:49], v1, s[10:11] offset:40
	global_load_b128 v[34:37], v1, s[10:11]
	v_readfirstlane_b32 s20, v46
	v_readfirstlane_b32 s21, v47
	s_mov_b32 s3, exec_lo
	s_wait_loadcnt 0x1
	v_and_b32_e32 v48, s20, v48
	v_and_b32_e32 v49, s21, v49
	s_delay_alu instid0(VALU_DEP_1) | instskip(SKIP_1) | instid1(VALU_DEP_1)
	v_mul_u64_e32 v[46:47], 24, v[48:49]
	s_wait_loadcnt 0x0
	v_add_nc_u64_e32 v[46:47], v[34:35], v[46:47]
	s_wait_xcnt 0x0
	s_and_saveexec_b32 s22, s2
	s_cbranch_execz .LBB3_91
; %bb.90:                               ;   in Loop: Header=BB3_34 Depth=2
	v_mov_b32_e32 v0, s3
	global_store_b128 v[46:47], v[0:3], off offset:8
.LBB3_91:                               ;   in Loop: Header=BB3_34 Depth=2
	s_wait_xcnt 0x0
	s_or_b32 exec_lo, exec_lo, s22
	v_cmp_lt_u64_e64 vcc_lo, s[14:15], 57
	v_lshlrev_b64_e32 v[48:49], 12, v[48:49]
	v_and_b32_e32 v5, 0xffffff1f, v16
	s_lshl_b32 s3, s18, 2
	s_delay_alu instid0(SALU_CYCLE_1) | instskip(SKIP_1) | instid1(VALU_DEP_3)
	s_add_co_i32 s3, s3, 28
	v_cndmask_b32_e32 v0, 0, v6, vcc_lo
	v_add_nc_u64_e32 v[36:37], v[36:37], v[48:49]
	s_delay_alu instid0(VALU_DEP_2) | instskip(NEXT) | instid1(VALU_DEP_2)
	v_or_b32_e32 v0, v5, v0
	v_readfirstlane_b32 s22, v36
	s_delay_alu instid0(VALU_DEP_3) | instskip(NEXT) | instid1(VALU_DEP_3)
	v_readfirstlane_b32 s23, v37
	v_and_or_b32 v16, 0x1e0, s3, v0
	s_clause 0x3
	global_store_b128 v42, v[16:19], s[22:23]
	global_store_b128 v42, v[22:25], s[22:23] offset:16
	global_store_b128 v42, v[26:29], s[22:23] offset:32
	;; [unrolled: 1-line block ×3, first 2 shown]
	s_wait_xcnt 0x0
	s_and_saveexec_b32 s3, s2
	s_cbranch_execz .LBB3_99
; %bb.92:                               ;   in Loop: Header=BB3_34 Depth=2
	s_clause 0x1
	global_load_b64 v[26:27], v1, s[10:11] offset:32 scope:SCOPE_SYS
	global_load_b64 v[16:17], v1, s[10:11] offset:40
	s_mov_b32 s22, exec_lo
	v_dual_mov_b32 v24, s20 :: v_dual_mov_b32 v25, s21
	s_wait_loadcnt 0x0
	v_and_b32_e32 v17, s21, v17
	v_and_b32_e32 v16, s20, v16
	s_delay_alu instid0(VALU_DEP_1) | instskip(NEXT) | instid1(VALU_DEP_1)
	v_mul_u64_e32 v[16:17], 24, v[16:17]
	v_add_nc_u64_e32 v[22:23], v[34:35], v[16:17]
	global_store_b64 v[22:23], v[26:27], off
	global_wb scope:SCOPE_SYS
	s_wait_storecnt 0x0
	s_wait_xcnt 0x0
	global_atomic_cmpswap_b64 v[18:19], v1, v[24:27], s[10:11] offset:32 th:TH_ATOMIC_RETURN scope:SCOPE_SYS
	s_wait_loadcnt 0x0
	s_wait_xcnt 0x0
	v_cmpx_ne_u64_e64 v[18:19], v[26:27]
	s_cbranch_execz .LBB3_95
; %bb.93:                               ;   in Loop: Header=BB3_34 Depth=2
	s_mov_b32 s23, 0
.LBB3_94:                               ;   Parent Loop BB3_5 Depth=1
                                        ;     Parent Loop BB3_34 Depth=2
                                        ; =>    This Inner Loop Header: Depth=3
	v_dual_mov_b32 v16, s20 :: v_dual_mov_b32 v17, s21
	s_sleep 1
	global_store_b64 v[22:23], v[18:19], off
	global_wb scope:SCOPE_SYS
	s_wait_storecnt 0x0
	s_wait_xcnt 0x0
	global_atomic_cmpswap_b64 v[16:17], v1, v[16:19], s[10:11] offset:32 th:TH_ATOMIC_RETURN scope:SCOPE_SYS
	s_wait_loadcnt 0x0
	v_cmp_eq_u64_e32 vcc_lo, v[16:17], v[18:19]
	s_wait_xcnt 0x0
	v_mov_b64_e32 v[18:19], v[16:17]
	s_or_b32 s23, vcc_lo, s23
	s_delay_alu instid0(SALU_CYCLE_1)
	s_and_not1_b32 exec_lo, exec_lo, s23
	s_cbranch_execnz .LBB3_94
.LBB3_95:                               ;   in Loop: Header=BB3_34 Depth=2
	s_or_b32 exec_lo, exec_lo, s22
	global_load_b64 v[16:17], v1, s[10:11] offset:16
	s_mov_b32 s23, exec_lo
	s_mov_b32 s22, exec_lo
	v_mbcnt_lo_u32_b32 v0, s23, 0
	s_wait_xcnt 0x0
	s_delay_alu instid0(VALU_DEP_1)
	v_cmpx_eq_u32_e32 0, v0
	s_cbranch_execz .LBB3_97
; %bb.96:                               ;   in Loop: Header=BB3_34 Depth=2
	s_bcnt1_i32_b32 s23, s23
	s_delay_alu instid0(SALU_CYCLE_1)
	v_mov_b32_e32 v0, s23
	global_wb scope:SCOPE_SYS
	s_wait_loadcnt 0x0
	s_wait_storecnt 0x0
	global_atomic_add_u64 v[16:17], v[0:1], off offset:8 scope:SCOPE_SYS
.LBB3_97:                               ;   in Loop: Header=BB3_34 Depth=2
	s_wait_xcnt 0x0
	s_or_b32 exec_lo, exec_lo, s22
	s_wait_loadcnt 0x0
	global_load_b64 v[18:19], v[16:17], off offset:16
	s_wait_loadcnt 0x0
	v_cmp_eq_u64_e32 vcc_lo, 0, v[18:19]
	s_cbranch_vccnz .LBB3_99
; %bb.98:                               ;   in Loop: Header=BB3_34 Depth=2
	global_load_b32 v0, v[16:17], off offset:24
	s_wait_loadcnt 0x0
	v_readfirstlane_b32 s22, v0
	global_wb scope:SCOPE_SYS
	s_wait_storecnt 0x0
	s_wait_xcnt 0x0
	global_store_b64 v[18:19], v[0:1], off scope:SCOPE_SYS
	s_and_b32 m0, s22, 0xffffff
	s_sendmsg sendmsg(MSG_INTERRUPT)
.LBB3_99:                               ;   in Loop: Header=BB3_34 Depth=2
	s_wait_xcnt 0x0
	s_or_b32 exec_lo, exec_lo, s3
	v_mov_b32_e32 v43, v1
	s_delay_alu instid0(VALU_DEP_1)
	v_add_nc_u64_e32 v[16:17], v[36:37], v[42:43]
	s_branch .LBB3_103
.LBB3_100:                              ;   in Loop: Header=BB3_103 Depth=3
	s_wait_xcnt 0x0
	s_or_b32 exec_lo, exec_lo, s3
	s_delay_alu instid0(VALU_DEP_1)
	v_readfirstlane_b32 s3, v0
	s_cmp_eq_u32 s3, 0
	s_cbranch_scc1 .LBB3_102
; %bb.101:                              ;   in Loop: Header=BB3_103 Depth=3
	s_sleep 1
	s_cbranch_execnz .LBB3_103
	s_branch .LBB3_105
.LBB3_102:                              ;   in Loop: Header=BB3_34 Depth=2
	s_branch .LBB3_105
.LBB3_103:                              ;   Parent Loop BB3_5 Depth=1
                                        ;     Parent Loop BB3_34 Depth=2
                                        ; =>    This Inner Loop Header: Depth=3
	v_mov_b32_e32 v0, 1
	s_and_saveexec_b32 s3, s2
	s_cbranch_execz .LBB3_100
; %bb.104:                              ;   in Loop: Header=BB3_103 Depth=3
	global_load_b32 v0, v[46:47], off offset:20 scope:SCOPE_SYS
	s_wait_loadcnt 0x0
	global_inv scope:SCOPE_SYS
	v_and_b32_e32 v0, 1, v0
	s_branch .LBB3_100
.LBB3_105:                              ;   in Loop: Header=BB3_34 Depth=2
	global_load_b64 v[16:17], v[16:17], off
	s_wait_xcnt 0x0
	s_and_saveexec_b32 s22, s2
	s_cbranch_execz .LBB3_33
; %bb.106:                              ;   in Loop: Header=BB3_34 Depth=2
	s_clause 0x2
	global_load_b64 v[18:19], v1, s[10:11] offset:40
	global_load_b64 v[26:27], v1, s[10:11] offset:24 scope:SCOPE_SYS
	global_load_b64 v[22:23], v1, s[10:11]
	s_wait_loadcnt 0x2
	v_readfirstlane_b32 s28, v18
	v_readfirstlane_b32 s29, v19
	s_add_nc_u64 s[2:3], s[28:29], 1
	s_delay_alu instid0(SALU_CYCLE_1) | instskip(NEXT) | instid1(SALU_CYCLE_1)
	s_add_nc_u64 s[20:21], s[2:3], s[20:21]
	s_cmp_eq_u64 s[20:21], 0
	s_cselect_b32 s3, s3, s21
	s_cselect_b32 s2, s2, s20
	s_delay_alu instid0(SALU_CYCLE_1) | instskip(SKIP_1) | instid1(SALU_CYCLE_1)
	v_dual_mov_b32 v25, s3 :: v_dual_mov_b32 v24, s2
	s_and_b64 s[20:21], s[2:3], s[28:29]
	s_mul_u64 s[20:21], s[20:21], 24
	s_wait_loadcnt 0x0
	v_add_nc_u64_e32 v[18:19], s[20:21], v[22:23]
	global_store_b64 v[18:19], v[26:27], off
	global_wb scope:SCOPE_SYS
	s_wait_storecnt 0x0
	s_wait_xcnt 0x0
	global_atomic_cmpswap_b64 v[24:25], v1, v[24:27], s[10:11] offset:24 th:TH_ATOMIC_RETURN scope:SCOPE_SYS
	s_wait_loadcnt 0x0
	v_cmp_ne_u64_e32 vcc_lo, v[24:25], v[26:27]
	s_wait_xcnt 0x0
	s_and_b32 exec_lo, exec_lo, vcc_lo
	s_cbranch_execz .LBB3_33
; %bb.107:                              ;   in Loop: Header=BB3_34 Depth=2
	s_mov_b32 s20, 0
.LBB3_108:                              ;   Parent Loop BB3_5 Depth=1
                                        ;     Parent Loop BB3_34 Depth=2
                                        ; =>    This Inner Loop Header: Depth=3
	v_dual_mov_b32 v22, s2 :: v_dual_mov_b32 v23, s3
	s_sleep 1
	global_store_b64 v[18:19], v[24:25], off
	global_wb scope:SCOPE_SYS
	s_wait_storecnt 0x0
	s_wait_xcnt 0x0
	global_atomic_cmpswap_b64 v[22:23], v1, v[22:25], s[10:11] offset:24 th:TH_ATOMIC_RETURN scope:SCOPE_SYS
	s_wait_loadcnt 0x0
	v_cmp_eq_u64_e32 vcc_lo, v[22:23], v[24:25]
	s_wait_xcnt 0x0
	v_mov_b64_e32 v[24:25], v[22:23]
	s_or_b32 s20, vcc_lo, s20
	s_delay_alu instid0(SALU_CYCLE_1)
	s_and_not1_b32 exec_lo, exec_lo, s20
	s_cbranch_execnz .LBB3_108
	s_branch .LBB3_33
.LBB3_109:                              ;   in Loop: Header=BB3_5 Depth=1
.LBB3_110:                              ;   in Loop: Header=BB3_5 Depth=1
	s_and_b32 vcc_lo, exec_lo, s26
	s_cbranch_vccz .LBB3_217
.LBB3_111:                              ;   in Loop: Header=BB3_5 Depth=1
	s_wait_loadcnt 0x0
	v_dual_mov_b32 v19, v17 :: v_dual_bitop2_b32 v6, 2, v16 bitop3:0x40
	v_and_b32_e32 v18, -3, v16
	s_mov_b64 s[16:17], 56
	s_get_pc_i64 s[14:15]
	s_add_nc_u64 s[14:15], s[14:15], .str.4@rel64+4
	s_branch .LBB3_113
.LBB3_112:                              ;   in Loop: Header=BB3_113 Depth=2
	s_or_b32 exec_lo, exec_lo, s22
	s_sub_nc_u64 s[16:17], s[16:17], s[18:19]
	s_add_nc_u64 s[14:15], s[14:15], s[18:19]
	s_cmp_lg_u64 s[16:17], 0
	s_cbranch_scc0 .LBB3_188
.LBB3_113:                              ;   Parent Loop BB3_5 Depth=1
                                        ; =>  This Loop Header: Depth=2
                                        ;       Child Loop BB3_116 Depth 3
                                        ;       Child Loop BB3_123 Depth 3
	;; [unrolled: 1-line block ×11, first 2 shown]
	v_min_u64 v[20:21], s[16:17], 56
	v_cmp_gt_u64_e64 s2, s[16:17], 7
	s_and_b32 vcc_lo, exec_lo, s2
	v_readfirstlane_b32 s18, v20
	v_readfirstlane_b32 s19, v21
	s_cbranch_vccnz .LBB3_118
; %bb.114:                              ;   in Loop: Header=BB3_113 Depth=2
	v_mov_b64_e32 v[20:21], 0
	s_cmp_eq_u64 s[16:17], 0
	s_cbranch_scc1 .LBB3_117
; %bb.115:                              ;   in Loop: Header=BB3_113 Depth=2
	s_mov_b64 s[2:3], 0
	s_mov_b64 s[20:21], 0
.LBB3_116:                              ;   Parent Loop BB3_5 Depth=1
                                        ;     Parent Loop BB3_113 Depth=2
                                        ; =>    This Inner Loop Header: Depth=3
	s_wait_xcnt 0x0
	s_add_nc_u64 s[22:23], s[14:15], s[20:21]
	s_add_nc_u64 s[20:21], s[20:21], 1
	global_load_u8 v0, v1, s[22:23]
	s_cmp_lg_u32 s18, s20
	s_wait_loadcnt 0x0
	v_and_b32_e32 v0, 0xffff, v0
	s_delay_alu instid0(VALU_DEP_1) | instskip(SKIP_1) | instid1(VALU_DEP_1)
	v_lshlrev_b64_e32 v[22:23], s2, v[0:1]
	s_add_nc_u64 s[2:3], s[2:3], 8
	v_or_b32_e32 v20, v22, v20
	s_delay_alu instid0(VALU_DEP_2)
	v_or_b32_e32 v21, v23, v21
	s_cbranch_scc1 .LBB3_116
.LBB3_117:                              ;   in Loop: Header=BB3_113 Depth=2
	s_mov_b64 s[2:3], s[14:15]
	s_mov_b32 s28, 0
	s_cbranch_execz .LBB3_119
	s_branch .LBB3_120
.LBB3_118:                              ;   in Loop: Header=BB3_113 Depth=2
	s_add_nc_u64 s[2:3], s[14:15], 8
	s_mov_b32 s28, 0
.LBB3_119:                              ;   in Loop: Header=BB3_113 Depth=2
	global_load_b64 v[20:21], v1, s[14:15]
	s_add_co_i32 s28, s18, -8
.LBB3_120:                              ;   in Loop: Header=BB3_113 Depth=2
	s_delay_alu instid0(SALU_CYCLE_1)
	s_cmp_gt_u32 s28, 7
	s_cbranch_scc1 .LBB3_125
; %bb.121:                              ;   in Loop: Header=BB3_113 Depth=2
	v_mov_b64_e32 v[22:23], 0
	s_cmp_eq_u32 s28, 0
	s_cbranch_scc1 .LBB3_124
; %bb.122:                              ;   in Loop: Header=BB3_113 Depth=2
	s_mov_b64 s[20:21], 0
	s_wait_xcnt 0x0
	s_mov_b64 s[22:23], 0
.LBB3_123:                              ;   Parent Loop BB3_5 Depth=1
                                        ;     Parent Loop BB3_113 Depth=2
                                        ; =>    This Inner Loop Header: Depth=3
	s_wait_xcnt 0x0
	s_add_nc_u64 s[30:31], s[2:3], s[22:23]
	s_add_nc_u64 s[22:23], s[22:23], 1
	global_load_u8 v0, v1, s[30:31]
	s_cmp_lg_u32 s28, s22
	s_wait_loadcnt 0x0
	v_and_b32_e32 v0, 0xffff, v0
	s_delay_alu instid0(VALU_DEP_1) | instskip(SKIP_1) | instid1(VALU_DEP_1)
	v_lshlrev_b64_e32 v[24:25], s20, v[0:1]
	s_add_nc_u64 s[20:21], s[20:21], 8
	v_or_b32_e32 v22, v24, v22
	s_delay_alu instid0(VALU_DEP_2)
	v_or_b32_e32 v23, v25, v23
	s_cbranch_scc1 .LBB3_123
.LBB3_124:                              ;   in Loop: Header=BB3_113 Depth=2
	s_wait_xcnt 0x0
	s_mov_b64 s[20:21], s[2:3]
	s_mov_b32 s29, 0
	s_cbranch_execz .LBB3_126
	s_branch .LBB3_127
.LBB3_125:                              ;   in Loop: Header=BB3_113 Depth=2
	s_add_nc_u64 s[20:21], s[2:3], 8
	s_wait_xcnt 0x0
                                        ; implicit-def: $vgpr22_vgpr23
	s_mov_b32 s29, 0
.LBB3_126:                              ;   in Loop: Header=BB3_113 Depth=2
	global_load_b64 v[22:23], v1, s[2:3]
	s_add_co_i32 s29, s28, -8
.LBB3_127:                              ;   in Loop: Header=BB3_113 Depth=2
	s_delay_alu instid0(SALU_CYCLE_1)
	s_cmp_gt_u32 s29, 7
	s_cbranch_scc1 .LBB3_132
; %bb.128:                              ;   in Loop: Header=BB3_113 Depth=2
	v_mov_b64_e32 v[24:25], 0
	s_cmp_eq_u32 s29, 0
	s_cbranch_scc1 .LBB3_131
; %bb.129:                              ;   in Loop: Header=BB3_113 Depth=2
	s_wait_xcnt 0x0
	s_mov_b64 s[2:3], 0
	s_mov_b64 s[22:23], 0
.LBB3_130:                              ;   Parent Loop BB3_5 Depth=1
                                        ;     Parent Loop BB3_113 Depth=2
                                        ; =>    This Inner Loop Header: Depth=3
	s_wait_xcnt 0x0
	s_add_nc_u64 s[30:31], s[20:21], s[22:23]
	s_add_nc_u64 s[22:23], s[22:23], 1
	global_load_u8 v0, v1, s[30:31]
	s_cmp_lg_u32 s29, s22
	s_wait_loadcnt 0x0
	v_and_b32_e32 v0, 0xffff, v0
	s_delay_alu instid0(VALU_DEP_1) | instskip(SKIP_1) | instid1(VALU_DEP_1)
	v_lshlrev_b64_e32 v[26:27], s2, v[0:1]
	s_add_nc_u64 s[2:3], s[2:3], 8
	v_or_b32_e32 v24, v26, v24
	s_delay_alu instid0(VALU_DEP_2)
	v_or_b32_e32 v25, v27, v25
	s_cbranch_scc1 .LBB3_130
.LBB3_131:                              ;   in Loop: Header=BB3_113 Depth=2
	s_wait_xcnt 0x0
	s_mov_b64 s[2:3], s[20:21]
	s_mov_b32 s28, 0
	s_cbranch_execz .LBB3_133
	s_branch .LBB3_134
.LBB3_132:                              ;   in Loop: Header=BB3_113 Depth=2
	s_wait_xcnt 0x0
	s_add_nc_u64 s[2:3], s[20:21], 8
	s_mov_b32 s28, 0
.LBB3_133:                              ;   in Loop: Header=BB3_113 Depth=2
	global_load_b64 v[24:25], v1, s[20:21]
	s_add_co_i32 s28, s29, -8
.LBB3_134:                              ;   in Loop: Header=BB3_113 Depth=2
	s_delay_alu instid0(SALU_CYCLE_1)
	s_cmp_gt_u32 s28, 7
	s_cbranch_scc1 .LBB3_139
; %bb.135:                              ;   in Loop: Header=BB3_113 Depth=2
	v_mov_b64_e32 v[26:27], 0
	s_cmp_eq_u32 s28, 0
	s_cbranch_scc1 .LBB3_138
; %bb.136:                              ;   in Loop: Header=BB3_113 Depth=2
	s_wait_xcnt 0x0
	s_mov_b64 s[20:21], 0
	s_mov_b64 s[22:23], 0
.LBB3_137:                              ;   Parent Loop BB3_5 Depth=1
                                        ;     Parent Loop BB3_113 Depth=2
                                        ; =>    This Inner Loop Header: Depth=3
	s_wait_xcnt 0x0
	s_add_nc_u64 s[30:31], s[2:3], s[22:23]
	s_add_nc_u64 s[22:23], s[22:23], 1
	global_load_u8 v0, v1, s[30:31]
	s_cmp_lg_u32 s28, s22
	s_wait_loadcnt 0x0
	v_and_b32_e32 v0, 0xffff, v0
	s_delay_alu instid0(VALU_DEP_1) | instskip(SKIP_1) | instid1(VALU_DEP_1)
	v_lshlrev_b64_e32 v[28:29], s20, v[0:1]
	s_add_nc_u64 s[20:21], s[20:21], 8
	v_or_b32_e32 v26, v28, v26
	s_delay_alu instid0(VALU_DEP_2)
	v_or_b32_e32 v27, v29, v27
	s_cbranch_scc1 .LBB3_137
.LBB3_138:                              ;   in Loop: Header=BB3_113 Depth=2
	s_wait_xcnt 0x0
	s_mov_b64 s[20:21], s[2:3]
	s_mov_b32 s29, 0
	s_cbranch_execz .LBB3_140
	s_branch .LBB3_141
.LBB3_139:                              ;   in Loop: Header=BB3_113 Depth=2
	s_wait_xcnt 0x0
	s_add_nc_u64 s[20:21], s[2:3], 8
                                        ; implicit-def: $vgpr26_vgpr27
	s_mov_b32 s29, 0
.LBB3_140:                              ;   in Loop: Header=BB3_113 Depth=2
	global_load_b64 v[26:27], v1, s[2:3]
	s_add_co_i32 s29, s28, -8
.LBB3_141:                              ;   in Loop: Header=BB3_113 Depth=2
	s_delay_alu instid0(SALU_CYCLE_1)
	s_cmp_gt_u32 s29, 7
	s_cbranch_scc1 .LBB3_146
; %bb.142:                              ;   in Loop: Header=BB3_113 Depth=2
	v_mov_b64_e32 v[28:29], 0
	s_cmp_eq_u32 s29, 0
	s_cbranch_scc1 .LBB3_145
; %bb.143:                              ;   in Loop: Header=BB3_113 Depth=2
	s_wait_xcnt 0x0
	s_mov_b64 s[2:3], 0
	s_mov_b64 s[22:23], 0
.LBB3_144:                              ;   Parent Loop BB3_5 Depth=1
                                        ;     Parent Loop BB3_113 Depth=2
                                        ; =>    This Inner Loop Header: Depth=3
	s_wait_xcnt 0x0
	s_add_nc_u64 s[30:31], s[20:21], s[22:23]
	s_add_nc_u64 s[22:23], s[22:23], 1
	global_load_u8 v0, v1, s[30:31]
	s_cmp_lg_u32 s29, s22
	s_wait_loadcnt 0x0
	v_and_b32_e32 v0, 0xffff, v0
	s_delay_alu instid0(VALU_DEP_1) | instskip(SKIP_1) | instid1(VALU_DEP_1)
	v_lshlrev_b64_e32 v[30:31], s2, v[0:1]
	s_add_nc_u64 s[2:3], s[2:3], 8
	v_or_b32_e32 v28, v30, v28
	s_delay_alu instid0(VALU_DEP_2)
	v_or_b32_e32 v29, v31, v29
	s_cbranch_scc1 .LBB3_144
.LBB3_145:                              ;   in Loop: Header=BB3_113 Depth=2
	s_wait_xcnt 0x0
	s_mov_b64 s[2:3], s[20:21]
	s_mov_b32 s28, 0
	s_cbranch_execz .LBB3_147
	s_branch .LBB3_148
.LBB3_146:                              ;   in Loop: Header=BB3_113 Depth=2
	s_wait_xcnt 0x0
	s_add_nc_u64 s[2:3], s[20:21], 8
	s_mov_b32 s28, 0
.LBB3_147:                              ;   in Loop: Header=BB3_113 Depth=2
	global_load_b64 v[28:29], v1, s[20:21]
	s_add_co_i32 s28, s29, -8
.LBB3_148:                              ;   in Loop: Header=BB3_113 Depth=2
	s_delay_alu instid0(SALU_CYCLE_1)
	s_cmp_gt_u32 s28, 7
	s_cbranch_scc1 .LBB3_153
; %bb.149:                              ;   in Loop: Header=BB3_113 Depth=2
	v_mov_b64_e32 v[30:31], 0
	s_cmp_eq_u32 s28, 0
	s_cbranch_scc1 .LBB3_152
; %bb.150:                              ;   in Loop: Header=BB3_113 Depth=2
	s_wait_xcnt 0x0
	s_mov_b64 s[20:21], 0
	s_mov_b64 s[22:23], 0
.LBB3_151:                              ;   Parent Loop BB3_5 Depth=1
                                        ;     Parent Loop BB3_113 Depth=2
                                        ; =>    This Inner Loop Header: Depth=3
	s_wait_xcnt 0x0
	s_add_nc_u64 s[30:31], s[2:3], s[22:23]
	s_add_nc_u64 s[22:23], s[22:23], 1
	global_load_u8 v0, v1, s[30:31]
	s_cmp_lg_u32 s28, s22
	s_wait_loadcnt 0x0
	v_and_b32_e32 v0, 0xffff, v0
	s_delay_alu instid0(VALU_DEP_1) | instskip(SKIP_1) | instid1(VALU_DEP_1)
	v_lshlrev_b64_e32 v[32:33], s20, v[0:1]
	s_add_nc_u64 s[20:21], s[20:21], 8
	v_or_b32_e32 v30, v32, v30
	s_delay_alu instid0(VALU_DEP_2)
	v_or_b32_e32 v31, v33, v31
	s_cbranch_scc1 .LBB3_151
.LBB3_152:                              ;   in Loop: Header=BB3_113 Depth=2
	s_wait_xcnt 0x0
	s_mov_b64 s[20:21], s[2:3]
	s_mov_b32 s29, 0
	s_cbranch_execz .LBB3_154
	s_branch .LBB3_155
.LBB3_153:                              ;   in Loop: Header=BB3_113 Depth=2
	s_wait_xcnt 0x0
	s_add_nc_u64 s[20:21], s[2:3], 8
                                        ; implicit-def: $vgpr30_vgpr31
	s_mov_b32 s29, 0
.LBB3_154:                              ;   in Loop: Header=BB3_113 Depth=2
	global_load_b64 v[30:31], v1, s[2:3]
	s_add_co_i32 s29, s28, -8
.LBB3_155:                              ;   in Loop: Header=BB3_113 Depth=2
	s_delay_alu instid0(SALU_CYCLE_1)
	s_cmp_gt_u32 s29, 7
	s_cbranch_scc1 .LBB3_160
; %bb.156:                              ;   in Loop: Header=BB3_113 Depth=2
	v_mov_b64_e32 v[32:33], 0
	s_cmp_eq_u32 s29, 0
	s_cbranch_scc1 .LBB3_159
; %bb.157:                              ;   in Loop: Header=BB3_113 Depth=2
	s_wait_xcnt 0x0
	s_mov_b64 s[2:3], 0
	s_mov_b64 s[22:23], s[20:21]
.LBB3_158:                              ;   Parent Loop BB3_5 Depth=1
                                        ;     Parent Loop BB3_113 Depth=2
                                        ; =>    This Inner Loop Header: Depth=3
	global_load_u8 v0, v1, s[22:23]
	s_add_co_i32 s29, s29, -1
	s_wait_xcnt 0x0
	s_add_nc_u64 s[22:23], s[22:23], 1
	s_cmp_lg_u32 s29, 0
	s_wait_loadcnt 0x0
	v_and_b32_e32 v0, 0xffff, v0
	s_delay_alu instid0(VALU_DEP_1) | instskip(SKIP_1) | instid1(VALU_DEP_1)
	v_lshlrev_b64_e32 v[34:35], s2, v[0:1]
	s_add_nc_u64 s[2:3], s[2:3], 8
	v_or_b32_e32 v32, v34, v32
	s_delay_alu instid0(VALU_DEP_2)
	v_or_b32_e32 v33, v35, v33
	s_cbranch_scc1 .LBB3_158
.LBB3_159:                              ;   in Loop: Header=BB3_113 Depth=2
	s_wait_xcnt 0x0
	s_cbranch_execz .LBB3_161
	s_branch .LBB3_162
.LBB3_160:                              ;   in Loop: Header=BB3_113 Depth=2
	s_wait_xcnt 0x0
.LBB3_161:                              ;   in Loop: Header=BB3_113 Depth=2
	global_load_b64 v[32:33], v1, s[20:21]
.LBB3_162:                              ;   in Loop: Header=BB3_113 Depth=2
	v_readfirstlane_b32 s2, v40
	v_mov_b64_e32 v[46:47], 0
	s_delay_alu instid0(VALU_DEP_2)
	v_cmp_eq_u32_e64 s2, s2, v40
	s_wait_xcnt 0x0
	s_and_saveexec_b32 s3, s2
	s_cbranch_execz .LBB3_168
; %bb.163:                              ;   in Loop: Header=BB3_113 Depth=2
	global_load_b64 v[36:37], v1, s[10:11] offset:24 scope:SCOPE_SYS
	s_wait_loadcnt 0x0
	global_inv scope:SCOPE_SYS
	s_clause 0x1
	global_load_b64 v[34:35], v1, s[10:11] offset:40
	global_load_b64 v[46:47], v1, s[10:11]
	s_mov_b32 s20, exec_lo
	s_wait_loadcnt 0x1
	v_and_b32_e32 v34, v34, v36
	v_and_b32_e32 v35, v35, v37
	s_delay_alu instid0(VALU_DEP_1) | instskip(SKIP_1) | instid1(VALU_DEP_1)
	v_mul_u64_e32 v[34:35], 24, v[34:35]
	s_wait_loadcnt 0x0
	v_add_nc_u64_e32 v[34:35], v[46:47], v[34:35]
	global_load_b64 v[34:35], v[34:35], off scope:SCOPE_SYS
	s_wait_xcnt 0x0
	s_wait_loadcnt 0x0
	global_atomic_cmpswap_b64 v[46:47], v1, v[34:37], s[10:11] offset:24 th:TH_ATOMIC_RETURN scope:SCOPE_SYS
	s_wait_loadcnt 0x0
	global_inv scope:SCOPE_SYS
	s_wait_xcnt 0x0
	v_cmpx_ne_u64_e64 v[46:47], v[36:37]
	s_cbranch_execz .LBB3_167
; %bb.164:                              ;   in Loop: Header=BB3_113 Depth=2
	s_mov_b32 s21, 0
.LBB3_165:                              ;   Parent Loop BB3_5 Depth=1
                                        ;     Parent Loop BB3_113 Depth=2
                                        ; =>    This Inner Loop Header: Depth=3
	s_sleep 1
	s_clause 0x1
	global_load_b64 v[34:35], v1, s[10:11] offset:40
	global_load_b64 v[48:49], v1, s[10:11]
	v_mov_b64_e32 v[36:37], v[46:47]
	s_wait_loadcnt 0x1
	s_delay_alu instid0(VALU_DEP_1) | instskip(SKIP_1) | instid1(VALU_DEP_1)
	v_and_b32_e32 v0, v34, v36
	s_wait_loadcnt 0x0
	v_mad_nc_u64_u32 v[46:47], v0, 24, v[48:49]
	s_delay_alu instid0(VALU_DEP_3) | instskip(NEXT) | instid1(VALU_DEP_1)
	v_and_b32_e32 v0, v35, v37
	v_mad_u32 v47, v0, 24, v47
	global_load_b64 v[34:35], v[46:47], off scope:SCOPE_SYS
	s_wait_xcnt 0x0
	s_wait_loadcnt 0x0
	global_atomic_cmpswap_b64 v[46:47], v1, v[34:37], s[10:11] offset:24 th:TH_ATOMIC_RETURN scope:SCOPE_SYS
	s_wait_loadcnt 0x0
	global_inv scope:SCOPE_SYS
	v_cmp_eq_u64_e32 vcc_lo, v[46:47], v[36:37]
	s_or_b32 s21, vcc_lo, s21
	s_wait_xcnt 0x0
	s_and_not1_b32 exec_lo, exec_lo, s21
	s_cbranch_execnz .LBB3_165
; %bb.166:                              ;   in Loop: Header=BB3_113 Depth=2
	s_or_b32 exec_lo, exec_lo, s21
.LBB3_167:                              ;   in Loop: Header=BB3_113 Depth=2
	s_delay_alu instid0(SALU_CYCLE_1)
	s_or_b32 exec_lo, exec_lo, s20
.LBB3_168:                              ;   in Loop: Header=BB3_113 Depth=2
	s_delay_alu instid0(SALU_CYCLE_1)
	s_or_b32 exec_lo, exec_lo, s3
	s_clause 0x1
	global_load_b64 v[48:49], v1, s[10:11] offset:40
	global_load_b128 v[34:37], v1, s[10:11]
	v_readfirstlane_b32 s20, v46
	v_readfirstlane_b32 s21, v47
	s_mov_b32 s3, exec_lo
	s_wait_loadcnt 0x1
	v_and_b32_e32 v48, s20, v48
	v_and_b32_e32 v49, s21, v49
	s_delay_alu instid0(VALU_DEP_1) | instskip(SKIP_1) | instid1(VALU_DEP_1)
	v_mul_u64_e32 v[46:47], 24, v[48:49]
	s_wait_loadcnt 0x0
	v_add_nc_u64_e32 v[46:47], v[34:35], v[46:47]
	s_wait_xcnt 0x0
	s_and_saveexec_b32 s22, s2
	s_cbranch_execz .LBB3_170
; %bb.169:                              ;   in Loop: Header=BB3_113 Depth=2
	v_mov_b32_e32 v0, s3
	global_store_b128 v[46:47], v[0:3], off offset:8
.LBB3_170:                              ;   in Loop: Header=BB3_113 Depth=2
	s_wait_xcnt 0x0
	s_or_b32 exec_lo, exec_lo, s22
	v_cmp_lt_u64_e64 vcc_lo, s[16:17], 57
	v_lshlrev_b64_e32 v[48:49], 12, v[48:49]
	v_and_b32_e32 v5, 0xffffff1f, v18
	s_lshl_b32 s3, s18, 2
	s_delay_alu instid0(SALU_CYCLE_1) | instskip(SKIP_1) | instid1(VALU_DEP_3)
	s_add_co_i32 s3, s3, 28
	v_cndmask_b32_e32 v0, 0, v6, vcc_lo
	v_add_nc_u64_e32 v[36:37], v[36:37], v[48:49]
	s_delay_alu instid0(VALU_DEP_2) | instskip(NEXT) | instid1(VALU_DEP_2)
	v_or_b32_e32 v0, v5, v0
	v_readfirstlane_b32 s22, v36
	s_delay_alu instid0(VALU_DEP_3) | instskip(NEXT) | instid1(VALU_DEP_3)
	v_readfirstlane_b32 s23, v37
	v_and_or_b32 v18, 0x1e0, s3, v0
	s_clause 0x3
	global_store_b128 v42, v[18:21], s[22:23]
	global_store_b128 v42, v[22:25], s[22:23] offset:16
	global_store_b128 v42, v[26:29], s[22:23] offset:32
	;; [unrolled: 1-line block ×3, first 2 shown]
	s_wait_xcnt 0x0
	s_and_saveexec_b32 s3, s2
	s_cbranch_execz .LBB3_178
; %bb.171:                              ;   in Loop: Header=BB3_113 Depth=2
	s_clause 0x1
	global_load_b64 v[26:27], v1, s[10:11] offset:32 scope:SCOPE_SYS
	global_load_b64 v[18:19], v1, s[10:11] offset:40
	s_mov_b32 s22, exec_lo
	v_dual_mov_b32 v24, s20 :: v_dual_mov_b32 v25, s21
	s_wait_loadcnt 0x0
	v_and_b32_e32 v19, s21, v19
	v_and_b32_e32 v18, s20, v18
	s_delay_alu instid0(VALU_DEP_1) | instskip(NEXT) | instid1(VALU_DEP_1)
	v_mul_u64_e32 v[18:19], 24, v[18:19]
	v_add_nc_u64_e32 v[22:23], v[34:35], v[18:19]
	global_store_b64 v[22:23], v[26:27], off
	global_wb scope:SCOPE_SYS
	s_wait_storecnt 0x0
	s_wait_xcnt 0x0
	global_atomic_cmpswap_b64 v[20:21], v1, v[24:27], s[10:11] offset:32 th:TH_ATOMIC_RETURN scope:SCOPE_SYS
	s_wait_loadcnt 0x0
	s_wait_xcnt 0x0
	v_cmpx_ne_u64_e64 v[20:21], v[26:27]
	s_cbranch_execz .LBB3_174
; %bb.172:                              ;   in Loop: Header=BB3_113 Depth=2
	s_mov_b32 s23, 0
.LBB3_173:                              ;   Parent Loop BB3_5 Depth=1
                                        ;     Parent Loop BB3_113 Depth=2
                                        ; =>    This Inner Loop Header: Depth=3
	v_dual_mov_b32 v18, s20 :: v_dual_mov_b32 v19, s21
	s_sleep 1
	global_store_b64 v[22:23], v[20:21], off
	global_wb scope:SCOPE_SYS
	s_wait_storecnt 0x0
	s_wait_xcnt 0x0
	global_atomic_cmpswap_b64 v[18:19], v1, v[18:21], s[10:11] offset:32 th:TH_ATOMIC_RETURN scope:SCOPE_SYS
	s_wait_loadcnt 0x0
	v_cmp_eq_u64_e32 vcc_lo, v[18:19], v[20:21]
	s_wait_xcnt 0x0
	v_mov_b64_e32 v[20:21], v[18:19]
	s_or_b32 s23, vcc_lo, s23
	s_delay_alu instid0(SALU_CYCLE_1)
	s_and_not1_b32 exec_lo, exec_lo, s23
	s_cbranch_execnz .LBB3_173
.LBB3_174:                              ;   in Loop: Header=BB3_113 Depth=2
	s_or_b32 exec_lo, exec_lo, s22
	global_load_b64 v[18:19], v1, s[10:11] offset:16
	s_mov_b32 s23, exec_lo
	s_mov_b32 s22, exec_lo
	v_mbcnt_lo_u32_b32 v0, s23, 0
	s_wait_xcnt 0x0
	s_delay_alu instid0(VALU_DEP_1)
	v_cmpx_eq_u32_e32 0, v0
	s_cbranch_execz .LBB3_176
; %bb.175:                              ;   in Loop: Header=BB3_113 Depth=2
	s_bcnt1_i32_b32 s23, s23
	s_delay_alu instid0(SALU_CYCLE_1)
	v_mov_b32_e32 v0, s23
	global_wb scope:SCOPE_SYS
	s_wait_loadcnt 0x0
	s_wait_storecnt 0x0
	global_atomic_add_u64 v[18:19], v[0:1], off offset:8 scope:SCOPE_SYS
.LBB3_176:                              ;   in Loop: Header=BB3_113 Depth=2
	s_wait_xcnt 0x0
	s_or_b32 exec_lo, exec_lo, s22
	s_wait_loadcnt 0x0
	global_load_b64 v[20:21], v[18:19], off offset:16
	s_wait_loadcnt 0x0
	v_cmp_eq_u64_e32 vcc_lo, 0, v[20:21]
	s_cbranch_vccnz .LBB3_178
; %bb.177:                              ;   in Loop: Header=BB3_113 Depth=2
	global_load_b32 v0, v[18:19], off offset:24
	s_wait_loadcnt 0x0
	v_readfirstlane_b32 s22, v0
	global_wb scope:SCOPE_SYS
	s_wait_storecnt 0x0
	s_wait_xcnt 0x0
	global_store_b64 v[20:21], v[0:1], off scope:SCOPE_SYS
	s_and_b32 m0, s22, 0xffffff
	s_sendmsg sendmsg(MSG_INTERRUPT)
.LBB3_178:                              ;   in Loop: Header=BB3_113 Depth=2
	s_wait_xcnt 0x0
	s_or_b32 exec_lo, exec_lo, s3
	v_mov_b32_e32 v43, v1
	s_delay_alu instid0(VALU_DEP_1)
	v_add_nc_u64_e32 v[18:19], v[36:37], v[42:43]
	s_branch .LBB3_182
.LBB3_179:                              ;   in Loop: Header=BB3_182 Depth=3
	s_wait_xcnt 0x0
	s_or_b32 exec_lo, exec_lo, s3
	s_delay_alu instid0(VALU_DEP_1)
	v_readfirstlane_b32 s3, v0
	s_cmp_eq_u32 s3, 0
	s_cbranch_scc1 .LBB3_181
; %bb.180:                              ;   in Loop: Header=BB3_182 Depth=3
	s_sleep 1
	s_cbranch_execnz .LBB3_182
	s_branch .LBB3_184
.LBB3_181:                              ;   in Loop: Header=BB3_113 Depth=2
	s_branch .LBB3_184
.LBB3_182:                              ;   Parent Loop BB3_5 Depth=1
                                        ;     Parent Loop BB3_113 Depth=2
                                        ; =>    This Inner Loop Header: Depth=3
	v_mov_b32_e32 v0, 1
	s_and_saveexec_b32 s3, s2
	s_cbranch_execz .LBB3_179
; %bb.183:                              ;   in Loop: Header=BB3_182 Depth=3
	global_load_b32 v0, v[46:47], off offset:20 scope:SCOPE_SYS
	s_wait_loadcnt 0x0
	global_inv scope:SCOPE_SYS
	v_and_b32_e32 v0, 1, v0
	s_branch .LBB3_179
.LBB3_184:                              ;   in Loop: Header=BB3_113 Depth=2
	global_load_b64 v[18:19], v[18:19], off
	s_wait_xcnt 0x0
	s_and_saveexec_b32 s22, s2
	s_cbranch_execz .LBB3_112
; %bb.185:                              ;   in Loop: Header=BB3_113 Depth=2
	s_clause 0x2
	global_load_b64 v[20:21], v1, s[10:11] offset:40
	global_load_b64 v[28:29], v1, s[10:11] offset:24 scope:SCOPE_SYS
	global_load_b64 v[22:23], v1, s[10:11]
	s_wait_loadcnt 0x2
	v_readfirstlane_b32 s28, v20
	v_readfirstlane_b32 s29, v21
	s_add_nc_u64 s[2:3], s[28:29], 1
	s_delay_alu instid0(SALU_CYCLE_1) | instskip(NEXT) | instid1(SALU_CYCLE_1)
	s_add_nc_u64 s[20:21], s[2:3], s[20:21]
	s_cmp_eq_u64 s[20:21], 0
	s_cselect_b32 s3, s3, s21
	s_cselect_b32 s2, s2, s20
	s_delay_alu instid0(SALU_CYCLE_1) | instskip(SKIP_1) | instid1(SALU_CYCLE_1)
	v_dual_mov_b32 v27, s3 :: v_dual_mov_b32 v26, s2
	s_and_b64 s[20:21], s[2:3], s[28:29]
	s_mul_u64 s[20:21], s[20:21], 24
	s_wait_loadcnt 0x0
	v_add_nc_u64_e32 v[24:25], s[20:21], v[22:23]
	global_store_b64 v[24:25], v[28:29], off
	global_wb scope:SCOPE_SYS
	s_wait_storecnt 0x0
	s_wait_xcnt 0x0
	global_atomic_cmpswap_b64 v[22:23], v1, v[26:29], s[10:11] offset:24 th:TH_ATOMIC_RETURN scope:SCOPE_SYS
	s_wait_loadcnt 0x0
	v_cmp_ne_u64_e32 vcc_lo, v[22:23], v[28:29]
	s_wait_xcnt 0x0
	s_and_b32 exec_lo, exec_lo, vcc_lo
	s_cbranch_execz .LBB3_112
; %bb.186:                              ;   in Loop: Header=BB3_113 Depth=2
	s_mov_b32 s20, 0
.LBB3_187:                              ;   Parent Loop BB3_5 Depth=1
                                        ;     Parent Loop BB3_113 Depth=2
                                        ; =>    This Inner Loop Header: Depth=3
	v_dual_mov_b32 v20, s2 :: v_dual_mov_b32 v21, s3
	s_sleep 1
	global_store_b64 v[24:25], v[22:23], off
	global_wb scope:SCOPE_SYS
	s_wait_storecnt 0x0
	s_wait_xcnt 0x0
	global_atomic_cmpswap_b64 v[20:21], v1, v[20:23], s[10:11] offset:24 th:TH_ATOMIC_RETURN scope:SCOPE_SYS
	s_wait_loadcnt 0x0
	v_cmp_eq_u64_e32 vcc_lo, v[20:21], v[22:23]
	s_wait_xcnt 0x0
	v_mov_b64_e32 v[22:23], v[20:21]
	s_or_b32 s20, vcc_lo, s20
	s_delay_alu instid0(SALU_CYCLE_1)
	s_and_not1_b32 exec_lo, exec_lo, s20
	s_cbranch_execnz .LBB3_187
	s_branch .LBB3_112
.LBB3_188:                              ;   in Loop: Header=BB3_5 Depth=1
	s_branch .LBB3_245
.LBB3_189:                              ;   in Loop: Header=BB3_5 Depth=1
                                        ; implicit-def: $vgpr16_vgpr17
	s_cbranch_execz .LBB3_110
; %bb.190:                              ;   in Loop: Header=BB3_5 Depth=1
	v_readfirstlane_b32 s2, v40
	v_mov_b64_e32 v[6:7], 0
	s_delay_alu instid0(VALU_DEP_2)
	v_cmp_eq_u32_e64 s2, s2, v40
	s_and_saveexec_b32 s3, s2
	s_cbranch_execz .LBB3_196
; %bb.191:                              ;   in Loop: Header=BB3_5 Depth=1
	global_load_b64 v[18:19], v1, s[10:11] offset:24 scope:SCOPE_SYS
	s_wait_loadcnt 0x0
	global_inv scope:SCOPE_SYS
	s_clause 0x1
	global_load_b64 v[6:7], v1, s[10:11] offset:40
	global_load_b64 v[16:17], v1, s[10:11]
	s_mov_b32 s14, exec_lo
	s_wait_loadcnt 0x1
	v_and_b32_e32 v6, v6, v18
	v_and_b32_e32 v7, v7, v19
	s_delay_alu instid0(VALU_DEP_1) | instskip(SKIP_1) | instid1(VALU_DEP_1)
	v_mul_u64_e32 v[6:7], 24, v[6:7]
	s_wait_loadcnt 0x0
	v_add_nc_u64_e32 v[6:7], v[16:17], v[6:7]
	global_load_b64 v[16:17], v[6:7], off scope:SCOPE_SYS
	s_wait_xcnt 0x0
	s_wait_loadcnt 0x0
	global_atomic_cmpswap_b64 v[6:7], v1, v[16:19], s[10:11] offset:24 th:TH_ATOMIC_RETURN scope:SCOPE_SYS
	s_wait_loadcnt 0x0
	global_inv scope:SCOPE_SYS
	s_wait_xcnt 0x0
	v_cmpx_ne_u64_e64 v[6:7], v[18:19]
	s_cbranch_execz .LBB3_195
; %bb.192:                              ;   in Loop: Header=BB3_5 Depth=1
	s_mov_b32 s15, 0
.LBB3_193:                              ;   Parent Loop BB3_5 Depth=1
                                        ; =>  This Inner Loop Header: Depth=2
	s_sleep 1
	s_clause 0x1
	global_load_b64 v[16:17], v1, s[10:11] offset:40
	global_load_b64 v[22:23], v1, s[10:11]
	v_mov_b64_e32 v[18:19], v[6:7]
	s_wait_loadcnt 0x1
	s_delay_alu instid0(VALU_DEP_1) | instskip(SKIP_1) | instid1(VALU_DEP_1)
	v_and_b32_e32 v0, v16, v18
	s_wait_loadcnt 0x0
	v_mad_nc_u64_u32 v[6:7], v0, 24, v[22:23]
	s_delay_alu instid0(VALU_DEP_3) | instskip(NEXT) | instid1(VALU_DEP_1)
	v_and_b32_e32 v0, v17, v19
	v_mad_u32 v7, v0, 24, v7
	global_load_b64 v[16:17], v[6:7], off scope:SCOPE_SYS
	s_wait_xcnt 0x0
	s_wait_loadcnt 0x0
	global_atomic_cmpswap_b64 v[6:7], v1, v[16:19], s[10:11] offset:24 th:TH_ATOMIC_RETURN scope:SCOPE_SYS
	s_wait_loadcnt 0x0
	global_inv scope:SCOPE_SYS
	v_cmp_eq_u64_e32 vcc_lo, v[6:7], v[18:19]
	s_or_b32 s15, vcc_lo, s15
	s_wait_xcnt 0x0
	s_and_not1_b32 exec_lo, exec_lo, s15
	s_cbranch_execnz .LBB3_193
; %bb.194:                              ;   in Loop: Header=BB3_5 Depth=1
	s_or_b32 exec_lo, exec_lo, s15
.LBB3_195:                              ;   in Loop: Header=BB3_5 Depth=1
	s_delay_alu instid0(SALU_CYCLE_1)
	s_or_b32 exec_lo, exec_lo, s14
.LBB3_196:                              ;   in Loop: Header=BB3_5 Depth=1
	s_delay_alu instid0(SALU_CYCLE_1)
	s_or_b32 exec_lo, exec_lo, s3
	global_load_b64 v[22:23], v1, s[10:11] offset:40
	s_wait_loadcnt 0x1
	global_load_b128 v[16:19], v1, s[10:11]
	v_readfirstlane_b32 s14, v6
	v_readfirstlane_b32 s15, v7
	s_mov_b32 s3, exec_lo
	s_wait_loadcnt 0x1
	v_and_b32_e32 v22, s14, v22
	v_and_b32_e32 v23, s15, v23
	s_delay_alu instid0(VALU_DEP_1) | instskip(SKIP_1) | instid1(VALU_DEP_1)
	v_mul_u64_e32 v[6:7], 24, v[22:23]
	s_wait_loadcnt 0x0
	v_add_nc_u64_e32 v[6:7], v[16:17], v[6:7]
	s_wait_xcnt 0x0
	s_and_saveexec_b32 s16, s2
	s_cbranch_execz .LBB3_198
; %bb.197:                              ;   in Loop: Header=BB3_5 Depth=1
	v_mov_b32_e32 v0, s3
	global_store_b128 v[6:7], v[0:3], off offset:8
.LBB3_198:                              ;   in Loop: Header=BB3_5 Depth=1
	s_wait_xcnt 0x0
	s_or_b32 exec_lo, exec_lo, s16
	v_lshlrev_b64_e32 v[22:23], 12, v[22:23]
	v_mov_b64_e32 v[28:29], s[6:7]
	v_mov_b64_e32 v[26:27], s[4:5]
	v_and_or_b32 v20, 0xffffff1f, v20, 32
	s_delay_alu instid0(VALU_DEP_4) | instskip(SKIP_1) | instid1(VALU_DEP_2)
	v_add_nc_u64_e32 v[24:25], v[18:19], v[22:23]
	v_dual_mov_b32 v22, v1 :: v_dual_mov_b32 v23, v1
	v_readfirstlane_b32 s16, v24
	s_delay_alu instid0(VALU_DEP_3)
	v_readfirstlane_b32 s17, v25
	s_clause 0x3
	global_store_b128 v42, v[20:23], s[16:17]
	global_store_b128 v42, v[26:29], s[16:17] offset:16
	global_store_b128 v42, v[26:29], s[16:17] offset:32
	;; [unrolled: 1-line block ×3, first 2 shown]
	s_wait_xcnt 0x0
	s_and_saveexec_b32 s3, s2
	s_cbranch_execz .LBB3_206
; %bb.199:                              ;   in Loop: Header=BB3_5 Depth=1
	s_clause 0x1
	global_load_b64 v[28:29], v1, s[10:11] offset:32 scope:SCOPE_SYS
	global_load_b64 v[18:19], v1, s[10:11] offset:40
	s_mov_b32 s16, exec_lo
	v_dual_mov_b32 v26, s14 :: v_dual_mov_b32 v27, s15
	s_wait_loadcnt 0x0
	v_and_b32_e32 v19, s15, v19
	v_and_b32_e32 v18, s14, v18
	s_delay_alu instid0(VALU_DEP_1) | instskip(NEXT) | instid1(VALU_DEP_1)
	v_mul_u64_e32 v[18:19], 24, v[18:19]
	v_add_nc_u64_e32 v[20:21], v[16:17], v[18:19]
	global_store_b64 v[20:21], v[28:29], off
	global_wb scope:SCOPE_SYS
	s_wait_storecnt 0x0
	s_wait_xcnt 0x0
	global_atomic_cmpswap_b64 v[18:19], v1, v[26:29], s[10:11] offset:32 th:TH_ATOMIC_RETURN scope:SCOPE_SYS
	s_wait_loadcnt 0x0
	s_wait_xcnt 0x0
	v_cmpx_ne_u64_e64 v[18:19], v[28:29]
	s_cbranch_execz .LBB3_202
; %bb.200:                              ;   in Loop: Header=BB3_5 Depth=1
	s_mov_b32 s17, 0
.LBB3_201:                              ;   Parent Loop BB3_5 Depth=1
                                        ; =>  This Inner Loop Header: Depth=2
	v_dual_mov_b32 v16, s14 :: v_dual_mov_b32 v17, s15
	s_sleep 1
	global_store_b64 v[20:21], v[18:19], off
	global_wb scope:SCOPE_SYS
	s_wait_storecnt 0x0
	s_wait_xcnt 0x0
	global_atomic_cmpswap_b64 v[16:17], v1, v[16:19], s[10:11] offset:32 th:TH_ATOMIC_RETURN scope:SCOPE_SYS
	s_wait_loadcnt 0x0
	v_cmp_eq_u64_e32 vcc_lo, v[16:17], v[18:19]
	s_wait_xcnt 0x0
	v_mov_b64_e32 v[18:19], v[16:17]
	s_or_b32 s17, vcc_lo, s17
	s_delay_alu instid0(SALU_CYCLE_1)
	s_and_not1_b32 exec_lo, exec_lo, s17
	s_cbranch_execnz .LBB3_201
.LBB3_202:                              ;   in Loop: Header=BB3_5 Depth=1
	s_or_b32 exec_lo, exec_lo, s16
	global_load_b64 v[16:17], v1, s[10:11] offset:16
	s_mov_b32 s17, exec_lo
	s_mov_b32 s16, exec_lo
	v_mbcnt_lo_u32_b32 v0, s17, 0
	s_wait_xcnt 0x0
	s_delay_alu instid0(VALU_DEP_1)
	v_cmpx_eq_u32_e32 0, v0
	s_cbranch_execz .LBB3_204
; %bb.203:                              ;   in Loop: Header=BB3_5 Depth=1
	s_bcnt1_i32_b32 s17, s17
	s_delay_alu instid0(SALU_CYCLE_1)
	v_mov_b32_e32 v0, s17
	global_wb scope:SCOPE_SYS
	s_wait_loadcnt 0x0
	s_wait_storecnt 0x0
	global_atomic_add_u64 v[16:17], v[0:1], off offset:8 scope:SCOPE_SYS
.LBB3_204:                              ;   in Loop: Header=BB3_5 Depth=1
	s_wait_xcnt 0x0
	s_or_b32 exec_lo, exec_lo, s16
	s_wait_loadcnt 0x0
	global_load_b64 v[18:19], v[16:17], off offset:16
	s_wait_loadcnt 0x0
	v_cmp_eq_u64_e32 vcc_lo, 0, v[18:19]
	s_cbranch_vccnz .LBB3_206
; %bb.205:                              ;   in Loop: Header=BB3_5 Depth=1
	global_load_b32 v0, v[16:17], off offset:24
	s_wait_loadcnt 0x0
	v_readfirstlane_b32 s16, v0
	global_wb scope:SCOPE_SYS
	s_wait_storecnt 0x0
	s_wait_xcnt 0x0
	global_store_b64 v[18:19], v[0:1], off scope:SCOPE_SYS
	s_and_b32 m0, s16, 0xffffff
	s_sendmsg sendmsg(MSG_INTERRUPT)
.LBB3_206:                              ;   in Loop: Header=BB3_5 Depth=1
	s_wait_xcnt 0x0
	s_or_b32 exec_lo, exec_lo, s3
	v_mov_b32_e32 v43, v1
	s_delay_alu instid0(VALU_DEP_1)
	v_add_nc_u64_e32 v[16:17], v[24:25], v[42:43]
	s_branch .LBB3_210
.LBB3_207:                              ;   in Loop: Header=BB3_210 Depth=2
	s_wait_xcnt 0x0
	s_or_b32 exec_lo, exec_lo, s3
	s_delay_alu instid0(VALU_DEP_1)
	v_readfirstlane_b32 s3, v0
	s_cmp_eq_u32 s3, 0
	s_cbranch_scc1 .LBB3_209
; %bb.208:                              ;   in Loop: Header=BB3_210 Depth=2
	s_sleep 1
	s_cbranch_execnz .LBB3_210
	s_branch .LBB3_212
.LBB3_209:                              ;   in Loop: Header=BB3_5 Depth=1
	s_branch .LBB3_212
.LBB3_210:                              ;   Parent Loop BB3_5 Depth=1
                                        ; =>  This Inner Loop Header: Depth=2
	v_mov_b32_e32 v0, 1
	s_and_saveexec_b32 s3, s2
	s_cbranch_execz .LBB3_207
; %bb.211:                              ;   in Loop: Header=BB3_210 Depth=2
	global_load_b32 v0, v[6:7], off offset:20 scope:SCOPE_SYS
	s_wait_loadcnt 0x0
	global_inv scope:SCOPE_SYS
	v_and_b32_e32 v0, 1, v0
	s_branch .LBB3_207
.LBB3_212:                              ;   in Loop: Header=BB3_5 Depth=1
	global_load_b64 v[16:17], v[16:17], off
	s_wait_xcnt 0x0
	s_and_saveexec_b32 s16, s2
	s_cbranch_execz .LBB3_216
; %bb.213:                              ;   in Loop: Header=BB3_5 Depth=1
	s_clause 0x2
	global_load_b64 v[6:7], v1, s[10:11] offset:40
	global_load_b64 v[22:23], v1, s[10:11] offset:24 scope:SCOPE_SYS
	global_load_b64 v[18:19], v1, s[10:11]
	s_wait_loadcnt 0x2
	v_readfirstlane_b32 s18, v6
	v_readfirstlane_b32 s19, v7
	s_add_nc_u64 s[2:3], s[18:19], 1
	s_delay_alu instid0(SALU_CYCLE_1) | instskip(NEXT) | instid1(SALU_CYCLE_1)
	s_add_nc_u64 s[14:15], s[2:3], s[14:15]
	s_cmp_eq_u64 s[14:15], 0
	s_cselect_b32 s3, s3, s15
	s_cselect_b32 s2, s2, s14
	s_delay_alu instid0(SALU_CYCLE_1) | instskip(SKIP_1) | instid1(SALU_CYCLE_1)
	v_dual_mov_b32 v21, s3 :: v_dual_mov_b32 v20, s2
	s_and_b64 s[14:15], s[2:3], s[18:19]
	s_mul_u64 s[14:15], s[14:15], 24
	s_wait_loadcnt 0x0
	v_add_nc_u64_e32 v[6:7], s[14:15], v[18:19]
	global_store_b64 v[6:7], v[22:23], off
	global_wb scope:SCOPE_SYS
	s_wait_storecnt 0x0
	s_wait_xcnt 0x0
	global_atomic_cmpswap_b64 v[20:21], v1, v[20:23], s[10:11] offset:24 th:TH_ATOMIC_RETURN scope:SCOPE_SYS
	s_wait_loadcnt 0x0
	v_cmp_ne_u64_e32 vcc_lo, v[20:21], v[22:23]
	s_wait_xcnt 0x0
	s_and_b32 exec_lo, exec_lo, vcc_lo
	s_cbranch_execz .LBB3_216
; %bb.214:                              ;   in Loop: Header=BB3_5 Depth=1
	s_mov_b32 s14, 0
.LBB3_215:                              ;   Parent Loop BB3_5 Depth=1
                                        ; =>  This Inner Loop Header: Depth=2
	v_dual_mov_b32 v18, s2 :: v_dual_mov_b32 v19, s3
	s_sleep 1
	global_store_b64 v[6:7], v[20:21], off
	global_wb scope:SCOPE_SYS
	s_wait_storecnt 0x0
	s_wait_xcnt 0x0
	global_atomic_cmpswap_b64 v[18:19], v1, v[18:21], s[10:11] offset:24 th:TH_ATOMIC_RETURN scope:SCOPE_SYS
	s_wait_loadcnt 0x0
	v_cmp_eq_u64_e32 vcc_lo, v[18:19], v[20:21]
	s_wait_xcnt 0x0
	v_mov_b64_e32 v[20:21], v[18:19]
	s_or_b32 s14, vcc_lo, s14
	s_delay_alu instid0(SALU_CYCLE_1)
	s_and_not1_b32 exec_lo, exec_lo, s14
	s_cbranch_execnz .LBB3_215
.LBB3_216:                              ;   in Loop: Header=BB3_5 Depth=1
	s_or_b32 exec_lo, exec_lo, s16
	s_delay_alu instid0(SALU_CYCLE_1)
	s_and_b32 vcc_lo, exec_lo, s26
	s_cbranch_vccnz .LBB3_111
.LBB3_217:                              ;   in Loop: Header=BB3_5 Depth=1
                                        ; implicit-def: $vgpr18_vgpr19
	s_cbranch_execz .LBB3_245
; %bb.218:                              ;   in Loop: Header=BB3_5 Depth=1
	v_readfirstlane_b32 s2, v40
	v_mov_b64_e32 v[6:7], 0
	s_delay_alu instid0(VALU_DEP_2)
	v_cmp_eq_u32_e64 s2, s2, v40
	s_and_saveexec_b32 s3, s2
	s_cbranch_execz .LBB3_224
; %bb.219:                              ;   in Loop: Header=BB3_5 Depth=1
	s_wait_loadcnt 0x0
	global_load_b64 v[20:21], v1, s[10:11] offset:24 scope:SCOPE_SYS
	s_wait_loadcnt 0x0
	global_inv scope:SCOPE_SYS
	s_clause 0x1
	global_load_b64 v[6:7], v1, s[10:11] offset:40
	global_load_b64 v[18:19], v1, s[10:11]
	s_mov_b32 s14, exec_lo
	s_wait_loadcnt 0x1
	v_and_b32_e32 v6, v6, v20
	v_and_b32_e32 v7, v7, v21
	s_delay_alu instid0(VALU_DEP_1) | instskip(SKIP_1) | instid1(VALU_DEP_1)
	v_mul_u64_e32 v[6:7], 24, v[6:7]
	s_wait_loadcnt 0x0
	v_add_nc_u64_e32 v[6:7], v[18:19], v[6:7]
	global_load_b64 v[18:19], v[6:7], off scope:SCOPE_SYS
	s_wait_xcnt 0x0
	s_wait_loadcnt 0x0
	global_atomic_cmpswap_b64 v[6:7], v1, v[18:21], s[10:11] offset:24 th:TH_ATOMIC_RETURN scope:SCOPE_SYS
	s_wait_loadcnt 0x0
	global_inv scope:SCOPE_SYS
	s_wait_xcnt 0x0
	v_cmpx_ne_u64_e64 v[6:7], v[20:21]
	s_cbranch_execz .LBB3_223
; %bb.220:                              ;   in Loop: Header=BB3_5 Depth=1
	s_mov_b32 s15, 0
.LBB3_221:                              ;   Parent Loop BB3_5 Depth=1
                                        ; =>  This Inner Loop Header: Depth=2
	s_sleep 1
	s_clause 0x1
	global_load_b64 v[18:19], v1, s[10:11] offset:40
	global_load_b64 v[22:23], v1, s[10:11]
	v_mov_b64_e32 v[20:21], v[6:7]
	s_wait_loadcnt 0x1
	s_delay_alu instid0(VALU_DEP_1) | instskip(SKIP_1) | instid1(VALU_DEP_1)
	v_and_b32_e32 v0, v18, v20
	s_wait_loadcnt 0x0
	v_mad_nc_u64_u32 v[6:7], v0, 24, v[22:23]
	s_delay_alu instid0(VALU_DEP_3) | instskip(NEXT) | instid1(VALU_DEP_1)
	v_and_b32_e32 v0, v19, v21
	v_mad_u32 v7, v0, 24, v7
	global_load_b64 v[18:19], v[6:7], off scope:SCOPE_SYS
	s_wait_xcnt 0x0
	s_wait_loadcnt 0x0
	global_atomic_cmpswap_b64 v[6:7], v1, v[18:21], s[10:11] offset:24 th:TH_ATOMIC_RETURN scope:SCOPE_SYS
	s_wait_loadcnt 0x0
	global_inv scope:SCOPE_SYS
	v_cmp_eq_u64_e32 vcc_lo, v[6:7], v[20:21]
	s_or_b32 s15, vcc_lo, s15
	s_wait_xcnt 0x0
	s_and_not1_b32 exec_lo, exec_lo, s15
	s_cbranch_execnz .LBB3_221
; %bb.222:                              ;   in Loop: Header=BB3_5 Depth=1
	s_or_b32 exec_lo, exec_lo, s15
.LBB3_223:                              ;   in Loop: Header=BB3_5 Depth=1
	s_delay_alu instid0(SALU_CYCLE_1)
	s_or_b32 exec_lo, exec_lo, s14
.LBB3_224:                              ;   in Loop: Header=BB3_5 Depth=1
	s_delay_alu instid0(SALU_CYCLE_1)
	s_or_b32 exec_lo, exec_lo, s3
	s_wait_loadcnt 0x0
	s_clause 0x1
	global_load_b64 v[18:19], v1, s[10:11] offset:40
	global_load_b128 v[20:23], v1, s[10:11]
	v_readfirstlane_b32 s14, v6
	v_readfirstlane_b32 s15, v7
	s_mov_b32 s3, exec_lo
	s_wait_loadcnt 0x1
	v_and_b32_e32 v18, s14, v18
	v_and_b32_e32 v19, s15, v19
	s_delay_alu instid0(VALU_DEP_1) | instskip(SKIP_1) | instid1(VALU_DEP_1)
	v_mul_u64_e32 v[6:7], 24, v[18:19]
	s_wait_loadcnt 0x0
	v_add_nc_u64_e32 v[6:7], v[20:21], v[6:7]
	s_wait_xcnt 0x0
	s_and_saveexec_b32 s16, s2
	s_cbranch_execz .LBB3_226
; %bb.225:                              ;   in Loop: Header=BB3_5 Depth=1
	v_mov_b32_e32 v0, s3
	global_store_b128 v[6:7], v[0:3], off offset:8
.LBB3_226:                              ;   in Loop: Header=BB3_5 Depth=1
	s_wait_xcnt 0x0
	s_or_b32 exec_lo, exec_lo, s16
	v_lshlrev_b64_e32 v[18:19], 12, v[18:19]
	v_mov_b64_e32 v[26:27], s[6:7]
	v_mov_b64_e32 v[24:25], s[4:5]
	v_and_or_b32 v16, 0xffffff1f, v16, 32
	s_delay_alu instid0(VALU_DEP_4) | instskip(SKIP_1) | instid1(VALU_DEP_2)
	v_add_nc_u64_e32 v[22:23], v[22:23], v[18:19]
	v_dual_mov_b32 v18, v1 :: v_dual_mov_b32 v19, v1
	v_readfirstlane_b32 s16, v22
	s_delay_alu instid0(VALU_DEP_3)
	v_readfirstlane_b32 s17, v23
	s_clause 0x3
	global_store_b128 v42, v[16:19], s[16:17]
	global_store_b128 v42, v[24:27], s[16:17] offset:16
	global_store_b128 v42, v[24:27], s[16:17] offset:32
	global_store_b128 v42, v[24:27], s[16:17] offset:48
	s_wait_xcnt 0x0
	s_and_saveexec_b32 s3, s2
	s_cbranch_execz .LBB3_234
; %bb.227:                              ;   in Loop: Header=BB3_5 Depth=1
	s_clause 0x1
	global_load_b64 v[26:27], v1, s[10:11] offset:32 scope:SCOPE_SYS
	global_load_b64 v[16:17], v1, s[10:11] offset:40
	s_mov_b32 s16, exec_lo
	v_dual_mov_b32 v24, s14 :: v_dual_mov_b32 v25, s15
	s_wait_loadcnt 0x0
	v_and_b32_e32 v17, s15, v17
	v_and_b32_e32 v16, s14, v16
	s_delay_alu instid0(VALU_DEP_1) | instskip(NEXT) | instid1(VALU_DEP_1)
	v_mul_u64_e32 v[16:17], 24, v[16:17]
	v_add_nc_u64_e32 v[20:21], v[20:21], v[16:17]
	global_store_b64 v[20:21], v[26:27], off
	global_wb scope:SCOPE_SYS
	s_wait_storecnt 0x0
	s_wait_xcnt 0x0
	global_atomic_cmpswap_b64 v[18:19], v1, v[24:27], s[10:11] offset:32 th:TH_ATOMIC_RETURN scope:SCOPE_SYS
	s_wait_loadcnt 0x0
	s_wait_xcnt 0x0
	v_cmpx_ne_u64_e64 v[18:19], v[26:27]
	s_cbranch_execz .LBB3_230
; %bb.228:                              ;   in Loop: Header=BB3_5 Depth=1
	s_mov_b32 s17, 0
.LBB3_229:                              ;   Parent Loop BB3_5 Depth=1
                                        ; =>  This Inner Loop Header: Depth=2
	v_dual_mov_b32 v16, s14 :: v_dual_mov_b32 v17, s15
	s_sleep 1
	global_store_b64 v[20:21], v[18:19], off
	global_wb scope:SCOPE_SYS
	s_wait_storecnt 0x0
	s_wait_xcnt 0x0
	global_atomic_cmpswap_b64 v[16:17], v1, v[16:19], s[10:11] offset:32 th:TH_ATOMIC_RETURN scope:SCOPE_SYS
	s_wait_loadcnt 0x0
	v_cmp_eq_u64_e32 vcc_lo, v[16:17], v[18:19]
	s_wait_xcnt 0x0
	v_mov_b64_e32 v[18:19], v[16:17]
	s_or_b32 s17, vcc_lo, s17
	s_delay_alu instid0(SALU_CYCLE_1)
	s_and_not1_b32 exec_lo, exec_lo, s17
	s_cbranch_execnz .LBB3_229
.LBB3_230:                              ;   in Loop: Header=BB3_5 Depth=1
	s_or_b32 exec_lo, exec_lo, s16
	global_load_b64 v[16:17], v1, s[10:11] offset:16
	s_mov_b32 s17, exec_lo
	s_mov_b32 s16, exec_lo
	v_mbcnt_lo_u32_b32 v0, s17, 0
	s_wait_xcnt 0x0
	s_delay_alu instid0(VALU_DEP_1)
	v_cmpx_eq_u32_e32 0, v0
	s_cbranch_execz .LBB3_232
; %bb.231:                              ;   in Loop: Header=BB3_5 Depth=1
	s_bcnt1_i32_b32 s17, s17
	s_delay_alu instid0(SALU_CYCLE_1)
	v_mov_b32_e32 v0, s17
	global_wb scope:SCOPE_SYS
	s_wait_loadcnt 0x0
	s_wait_storecnt 0x0
	global_atomic_add_u64 v[16:17], v[0:1], off offset:8 scope:SCOPE_SYS
.LBB3_232:                              ;   in Loop: Header=BB3_5 Depth=1
	s_wait_xcnt 0x0
	s_or_b32 exec_lo, exec_lo, s16
	s_wait_loadcnt 0x0
	global_load_b64 v[18:19], v[16:17], off offset:16
	s_wait_loadcnt 0x0
	v_cmp_eq_u64_e32 vcc_lo, 0, v[18:19]
	s_cbranch_vccnz .LBB3_234
; %bb.233:                              ;   in Loop: Header=BB3_5 Depth=1
	global_load_b32 v0, v[16:17], off offset:24
	s_wait_loadcnt 0x0
	v_readfirstlane_b32 s16, v0
	global_wb scope:SCOPE_SYS
	s_wait_storecnt 0x0
	s_wait_xcnt 0x0
	global_store_b64 v[18:19], v[0:1], off scope:SCOPE_SYS
	s_and_b32 m0, s16, 0xffffff
	s_sendmsg sendmsg(MSG_INTERRUPT)
.LBB3_234:                              ;   in Loop: Header=BB3_5 Depth=1
	s_wait_xcnt 0x0
	s_or_b32 exec_lo, exec_lo, s3
	v_mov_b32_e32 v43, v1
	s_delay_alu instid0(VALU_DEP_1)
	v_add_nc_u64_e32 v[16:17], v[22:23], v[42:43]
	s_branch .LBB3_238
.LBB3_235:                              ;   in Loop: Header=BB3_238 Depth=2
	s_wait_xcnt 0x0
	s_or_b32 exec_lo, exec_lo, s3
	s_delay_alu instid0(VALU_DEP_1)
	v_readfirstlane_b32 s3, v0
	s_cmp_eq_u32 s3, 0
	s_cbranch_scc1 .LBB3_237
; %bb.236:                              ;   in Loop: Header=BB3_238 Depth=2
	s_sleep 1
	s_cbranch_execnz .LBB3_238
	s_branch .LBB3_240
.LBB3_237:                              ;   in Loop: Header=BB3_5 Depth=1
	s_branch .LBB3_240
.LBB3_238:                              ;   Parent Loop BB3_5 Depth=1
                                        ; =>  This Inner Loop Header: Depth=2
	v_mov_b32_e32 v0, 1
	s_and_saveexec_b32 s3, s2
	s_cbranch_execz .LBB3_235
; %bb.239:                              ;   in Loop: Header=BB3_238 Depth=2
	global_load_b32 v0, v[6:7], off offset:20 scope:SCOPE_SYS
	s_wait_loadcnt 0x0
	global_inv scope:SCOPE_SYS
	v_and_b32_e32 v0, 1, v0
	s_branch .LBB3_235
.LBB3_240:                              ;   in Loop: Header=BB3_5 Depth=1
	global_load_b64 v[18:19], v[16:17], off
	s_wait_xcnt 0x0
	s_and_saveexec_b32 s16, s2
	s_cbranch_execz .LBB3_244
; %bb.241:                              ;   in Loop: Header=BB3_5 Depth=1
	s_clause 0x2
	global_load_b64 v[6:7], v1, s[10:11] offset:40
	global_load_b64 v[24:25], v1, s[10:11] offset:24 scope:SCOPE_SYS
	global_load_b64 v[16:17], v1, s[10:11]
	s_wait_loadcnt 0x2
	v_readfirstlane_b32 s18, v6
	v_readfirstlane_b32 s19, v7
	s_add_nc_u64 s[2:3], s[18:19], 1
	s_delay_alu instid0(SALU_CYCLE_1) | instskip(NEXT) | instid1(SALU_CYCLE_1)
	s_add_nc_u64 s[14:15], s[2:3], s[14:15]
	s_cmp_eq_u64 s[14:15], 0
	s_cselect_b32 s3, s3, s15
	s_cselect_b32 s2, s2, s14
	s_delay_alu instid0(SALU_CYCLE_1) | instskip(SKIP_1) | instid1(SALU_CYCLE_1)
	v_dual_mov_b32 v23, s3 :: v_dual_mov_b32 v22, s2
	s_and_b64 s[14:15], s[2:3], s[18:19]
	s_mul_u64 s[14:15], s[14:15], 24
	s_wait_loadcnt 0x0
	v_add_nc_u64_e32 v[6:7], s[14:15], v[16:17]
	global_store_b64 v[6:7], v[24:25], off
	global_wb scope:SCOPE_SYS
	s_wait_storecnt 0x0
	s_wait_xcnt 0x0
	global_atomic_cmpswap_b64 v[22:23], v1, v[22:25], s[10:11] offset:24 th:TH_ATOMIC_RETURN scope:SCOPE_SYS
	s_wait_loadcnt 0x0
	v_cmp_ne_u64_e32 vcc_lo, v[22:23], v[24:25]
	s_wait_xcnt 0x0
	s_and_b32 exec_lo, exec_lo, vcc_lo
	s_cbranch_execz .LBB3_244
; %bb.242:                              ;   in Loop: Header=BB3_5 Depth=1
	s_mov_b32 s14, 0
.LBB3_243:                              ;   Parent Loop BB3_5 Depth=1
                                        ; =>  This Inner Loop Header: Depth=2
	v_dual_mov_b32 v20, s2 :: v_dual_mov_b32 v21, s3
	s_sleep 1
	global_store_b64 v[6:7], v[22:23], off
	global_wb scope:SCOPE_SYS
	s_wait_storecnt 0x0
	s_wait_xcnt 0x0
	global_atomic_cmpswap_b64 v[16:17], v1, v[20:23], s[10:11] offset:24 th:TH_ATOMIC_RETURN scope:SCOPE_SYS
	s_wait_loadcnt 0x0
	v_cmp_eq_u64_e32 vcc_lo, v[16:17], v[22:23]
	s_wait_xcnt 0x0
	v_mov_b64_e32 v[22:23], v[16:17]
	s_or_b32 s14, vcc_lo, s14
	s_delay_alu instid0(SALU_CYCLE_1)
	s_and_not1_b32 exec_lo, exec_lo, s14
	s_cbranch_execnz .LBB3_243
.LBB3_244:                              ;   in Loop: Header=BB3_5 Depth=1
	s_or_b32 exec_lo, exec_lo, s16
.LBB3_245:                              ;   in Loop: Header=BB3_5 Depth=1
	v_readfirstlane_b32 s2, v40
	v_mov_b64_e32 v[6:7], 0
	s_delay_alu instid0(VALU_DEP_2)
	v_cmp_eq_u32_e64 s2, s2, v40
	s_and_saveexec_b32 s3, s2
	s_cbranch_execz .LBB3_251
; %bb.246:                              ;   in Loop: Header=BB3_5 Depth=1
	global_load_b64 v[22:23], v1, s[10:11] offset:24 scope:SCOPE_SYS
	s_wait_loadcnt 0x0
	global_inv scope:SCOPE_SYS
	s_clause 0x1
	global_load_b64 v[6:7], v1, s[10:11] offset:40
	global_load_b64 v[16:17], v1, s[10:11]
	s_mov_b32 s14, exec_lo
	s_wait_loadcnt 0x1
	v_and_b32_e32 v6, v6, v22
	v_and_b32_e32 v7, v7, v23
	s_delay_alu instid0(VALU_DEP_1) | instskip(SKIP_1) | instid1(VALU_DEP_1)
	v_mul_u64_e32 v[6:7], 24, v[6:7]
	s_wait_loadcnt 0x0
	v_add_nc_u64_e32 v[6:7], v[16:17], v[6:7]
	global_load_b64 v[20:21], v[6:7], off scope:SCOPE_SYS
	s_wait_xcnt 0x0
	s_wait_loadcnt 0x0
	global_atomic_cmpswap_b64 v[6:7], v1, v[20:23], s[10:11] offset:24 th:TH_ATOMIC_RETURN scope:SCOPE_SYS
	s_wait_loadcnt 0x0
	global_inv scope:SCOPE_SYS
	s_wait_xcnt 0x0
	v_cmpx_ne_u64_e64 v[6:7], v[22:23]
	s_cbranch_execz .LBB3_250
; %bb.247:                              ;   in Loop: Header=BB3_5 Depth=1
	s_mov_b32 s15, 0
.LBB3_248:                              ;   Parent Loop BB3_5 Depth=1
                                        ; =>  This Inner Loop Header: Depth=2
	s_sleep 1
	s_clause 0x1
	global_load_b64 v[16:17], v1, s[10:11] offset:40
	global_load_b64 v[20:21], v1, s[10:11]
	v_mov_b64_e32 v[22:23], v[6:7]
	s_wait_loadcnt 0x1
	s_delay_alu instid0(VALU_DEP_1) | instskip(SKIP_1) | instid1(VALU_DEP_1)
	v_and_b32_e32 v0, v16, v22
	s_wait_loadcnt 0x0
	v_mad_nc_u64_u32 v[6:7], v0, 24, v[20:21]
	s_delay_alu instid0(VALU_DEP_3) | instskip(NEXT) | instid1(VALU_DEP_1)
	v_and_b32_e32 v0, v17, v23
	v_mad_u32 v7, v0, 24, v7
	global_load_b64 v[20:21], v[6:7], off scope:SCOPE_SYS
	s_wait_xcnt 0x0
	s_wait_loadcnt 0x0
	global_atomic_cmpswap_b64 v[6:7], v1, v[20:23], s[10:11] offset:24 th:TH_ATOMIC_RETURN scope:SCOPE_SYS
	s_wait_loadcnt 0x0
	global_inv scope:SCOPE_SYS
	v_cmp_eq_u64_e32 vcc_lo, v[6:7], v[22:23]
	s_or_b32 s15, vcc_lo, s15
	s_wait_xcnt 0x0
	s_and_not1_b32 exec_lo, exec_lo, s15
	s_cbranch_execnz .LBB3_248
; %bb.249:                              ;   in Loop: Header=BB3_5 Depth=1
	s_or_b32 exec_lo, exec_lo, s15
.LBB3_250:                              ;   in Loop: Header=BB3_5 Depth=1
	s_delay_alu instid0(SALU_CYCLE_1)
	s_or_b32 exec_lo, exec_lo, s14
.LBB3_251:                              ;   in Loop: Header=BB3_5 Depth=1
	s_delay_alu instid0(SALU_CYCLE_1)
	s_or_b32 exec_lo, exec_lo, s3
	s_wait_loadcnt 0x0
	s_clause 0x1
	global_load_b64 v[16:17], v1, s[10:11] offset:40
	global_load_b128 v[22:25], v1, s[10:11]
	v_readfirstlane_b32 s14, v6
	v_readfirstlane_b32 s15, v7
	s_mov_b32 s3, exec_lo
	s_wait_loadcnt 0x1
	v_and_b32_e32 v16, s14, v16
	v_and_b32_e32 v17, s15, v17
	s_delay_alu instid0(VALU_DEP_1) | instskip(SKIP_1) | instid1(VALU_DEP_1)
	v_mul_u64_e32 v[6:7], 24, v[16:17]
	s_wait_loadcnt 0x0
	v_add_nc_u64_e32 v[6:7], v[22:23], v[6:7]
	s_wait_xcnt 0x0
	s_and_saveexec_b32 s16, s2
	s_cbranch_execz .LBB3_253
; %bb.252:                              ;   in Loop: Header=BB3_5 Depth=1
	v_mov_b32_e32 v0, s3
	global_store_b128 v[6:7], v[0:3], off offset:8
.LBB3_253:                              ;   in Loop: Header=BB3_5 Depth=1
	s_wait_xcnt 0x0
	s_or_b32 exec_lo, exec_lo, s16
	v_lshlrev_b64_e32 v[16:17], 12, v[16:17]
	v_mov_b64_e32 v[28:29], s[6:7]
	v_mov_b64_e32 v[26:27], s[4:5]
	v_and_or_b32 v18, 0xffffff1f, v18, 32
	v_dual_mov_b32 v20, v38 :: v_dual_mov_b32 v21, v39
	v_add_nc_u64_e32 v[24:25], v[24:25], v[16:17]
	s_delay_alu instid0(VALU_DEP_1) | instskip(NEXT) | instid1(VALU_DEP_2)
	v_readfirstlane_b32 s16, v24
	v_readfirstlane_b32 s17, v25
	s_clause 0x3
	global_store_b128 v42, v[18:21], s[16:17]
	global_store_b128 v42, v[26:29], s[16:17] offset:16
	global_store_b128 v42, v[26:29], s[16:17] offset:32
	;; [unrolled: 1-line block ×3, first 2 shown]
	s_wait_xcnt 0x0
	s_and_saveexec_b32 s3, s2
	s_cbranch_execz .LBB3_261
; %bb.254:                              ;   in Loop: Header=BB3_5 Depth=1
	s_clause 0x1
	global_load_b64 v[28:29], v1, s[10:11] offset:32 scope:SCOPE_SYS
	global_load_b64 v[16:17], v1, s[10:11] offset:40
	s_mov_b32 s16, exec_lo
	v_dual_mov_b32 v26, s14 :: v_dual_mov_b32 v27, s15
	s_wait_loadcnt 0x0
	v_and_b32_e32 v17, s15, v17
	v_and_b32_e32 v16, s14, v16
	s_delay_alu instid0(VALU_DEP_1) | instskip(NEXT) | instid1(VALU_DEP_1)
	v_mul_u64_e32 v[16:17], 24, v[16:17]
	v_add_nc_u64_e32 v[20:21], v[22:23], v[16:17]
	global_store_b64 v[20:21], v[28:29], off
	global_wb scope:SCOPE_SYS
	s_wait_storecnt 0x0
	s_wait_xcnt 0x0
	global_atomic_cmpswap_b64 v[18:19], v1, v[26:29], s[10:11] offset:32 th:TH_ATOMIC_RETURN scope:SCOPE_SYS
	s_wait_loadcnt 0x0
	s_wait_xcnt 0x0
	v_cmpx_ne_u64_e64 v[18:19], v[28:29]
	s_cbranch_execz .LBB3_257
; %bb.255:                              ;   in Loop: Header=BB3_5 Depth=1
	s_mov_b32 s17, 0
.LBB3_256:                              ;   Parent Loop BB3_5 Depth=1
                                        ; =>  This Inner Loop Header: Depth=2
	v_dual_mov_b32 v16, s14 :: v_dual_mov_b32 v17, s15
	s_sleep 1
	global_store_b64 v[20:21], v[18:19], off
	global_wb scope:SCOPE_SYS
	s_wait_storecnt 0x0
	s_wait_xcnt 0x0
	global_atomic_cmpswap_b64 v[16:17], v1, v[16:19], s[10:11] offset:32 th:TH_ATOMIC_RETURN scope:SCOPE_SYS
	s_wait_loadcnt 0x0
	v_cmp_eq_u64_e32 vcc_lo, v[16:17], v[18:19]
	s_wait_xcnt 0x0
	v_mov_b64_e32 v[18:19], v[16:17]
	s_or_b32 s17, vcc_lo, s17
	s_delay_alu instid0(SALU_CYCLE_1)
	s_and_not1_b32 exec_lo, exec_lo, s17
	s_cbranch_execnz .LBB3_256
.LBB3_257:                              ;   in Loop: Header=BB3_5 Depth=1
	s_or_b32 exec_lo, exec_lo, s16
	global_load_b64 v[16:17], v1, s[10:11] offset:16
	s_mov_b32 s17, exec_lo
	s_mov_b32 s16, exec_lo
	v_mbcnt_lo_u32_b32 v0, s17, 0
	s_wait_xcnt 0x0
	s_delay_alu instid0(VALU_DEP_1)
	v_cmpx_eq_u32_e32 0, v0
	s_cbranch_execz .LBB3_259
; %bb.258:                              ;   in Loop: Header=BB3_5 Depth=1
	s_bcnt1_i32_b32 s17, s17
	s_delay_alu instid0(SALU_CYCLE_1)
	v_mov_b32_e32 v0, s17
	global_wb scope:SCOPE_SYS
	s_wait_loadcnt 0x0
	s_wait_storecnt 0x0
	global_atomic_add_u64 v[16:17], v[0:1], off offset:8 scope:SCOPE_SYS
.LBB3_259:                              ;   in Loop: Header=BB3_5 Depth=1
	s_wait_xcnt 0x0
	s_or_b32 exec_lo, exec_lo, s16
	s_wait_loadcnt 0x0
	global_load_b64 v[18:19], v[16:17], off offset:16
	s_wait_loadcnt 0x0
	v_cmp_eq_u64_e32 vcc_lo, 0, v[18:19]
	s_cbranch_vccnz .LBB3_261
; %bb.260:                              ;   in Loop: Header=BB3_5 Depth=1
	global_load_b32 v0, v[16:17], off offset:24
	s_wait_loadcnt 0x0
	v_readfirstlane_b32 s16, v0
	global_wb scope:SCOPE_SYS
	s_wait_storecnt 0x0
	s_wait_xcnt 0x0
	global_store_b64 v[18:19], v[0:1], off scope:SCOPE_SYS
	s_and_b32 m0, s16, 0xffffff
	s_sendmsg sendmsg(MSG_INTERRUPT)
.LBB3_261:                              ;   in Loop: Header=BB3_5 Depth=1
	s_wait_xcnt 0x0
	s_or_b32 exec_lo, exec_lo, s3
	v_mov_b32_e32 v43, v1
	s_delay_alu instid0(VALU_DEP_1)
	v_add_nc_u64_e32 v[16:17], v[24:25], v[42:43]
	s_branch .LBB3_265
.LBB3_262:                              ;   in Loop: Header=BB3_265 Depth=2
	s_wait_xcnt 0x0
	s_or_b32 exec_lo, exec_lo, s3
	s_delay_alu instid0(VALU_DEP_1)
	v_readfirstlane_b32 s3, v0
	s_cmp_eq_u32 s3, 0
	s_cbranch_scc1 .LBB3_264
; %bb.263:                              ;   in Loop: Header=BB3_265 Depth=2
	s_sleep 1
	s_cbranch_execnz .LBB3_265
	s_branch .LBB3_267
.LBB3_264:                              ;   in Loop: Header=BB3_5 Depth=1
	s_branch .LBB3_267
.LBB3_265:                              ;   Parent Loop BB3_5 Depth=1
                                        ; =>  This Inner Loop Header: Depth=2
	v_mov_b32_e32 v0, 1
	s_and_saveexec_b32 s3, s2
	s_cbranch_execz .LBB3_262
; %bb.266:                              ;   in Loop: Header=BB3_265 Depth=2
	global_load_b32 v0, v[6:7], off offset:20 scope:SCOPE_SYS
	s_wait_loadcnt 0x0
	global_inv scope:SCOPE_SYS
	v_and_b32_e32 v0, 1, v0
	s_branch .LBB3_262
.LBB3_267:                              ;   in Loop: Header=BB3_5 Depth=1
	global_load_b64 v[16:17], v[16:17], off
	s_wait_xcnt 0x0
	s_and_saveexec_b32 s16, s2
	s_cbranch_execz .LBB3_271
; %bb.268:                              ;   in Loop: Header=BB3_5 Depth=1
	s_clause 0x2
	global_load_b64 v[6:7], v1, s[10:11] offset:40
	global_load_b64 v[22:23], v1, s[10:11] offset:24 scope:SCOPE_SYS
	global_load_b64 v[18:19], v1, s[10:11]
	s_wait_loadcnt 0x2
	v_readfirstlane_b32 s18, v6
	v_readfirstlane_b32 s19, v7
	s_add_nc_u64 s[2:3], s[18:19], 1
	s_delay_alu instid0(SALU_CYCLE_1) | instskip(NEXT) | instid1(SALU_CYCLE_1)
	s_add_nc_u64 s[14:15], s[2:3], s[14:15]
	s_cmp_eq_u64 s[14:15], 0
	s_cselect_b32 s3, s3, s15
	s_cselect_b32 s2, s2, s14
	s_delay_alu instid0(SALU_CYCLE_1) | instskip(SKIP_1) | instid1(SALU_CYCLE_1)
	v_dual_mov_b32 v21, s3 :: v_dual_mov_b32 v20, s2
	s_and_b64 s[14:15], s[2:3], s[18:19]
	s_mul_u64 s[14:15], s[14:15], 24
	s_wait_loadcnt 0x0
	v_add_nc_u64_e32 v[6:7], s[14:15], v[18:19]
	global_store_b64 v[6:7], v[22:23], off
	global_wb scope:SCOPE_SYS
	s_wait_storecnt 0x0
	s_wait_xcnt 0x0
	global_atomic_cmpswap_b64 v[20:21], v1, v[20:23], s[10:11] offset:24 th:TH_ATOMIC_RETURN scope:SCOPE_SYS
	s_wait_loadcnt 0x0
	v_cmp_ne_u64_e32 vcc_lo, v[20:21], v[22:23]
	s_wait_xcnt 0x0
	s_and_b32 exec_lo, exec_lo, vcc_lo
	s_cbranch_execz .LBB3_271
; %bb.269:                              ;   in Loop: Header=BB3_5 Depth=1
	s_mov_b32 s14, 0
.LBB3_270:                              ;   Parent Loop BB3_5 Depth=1
                                        ; =>  This Inner Loop Header: Depth=2
	v_dual_mov_b32 v18, s2 :: v_dual_mov_b32 v19, s3
	s_sleep 1
	global_store_b64 v[6:7], v[20:21], off
	global_wb scope:SCOPE_SYS
	s_wait_storecnt 0x0
	s_wait_xcnt 0x0
	global_atomic_cmpswap_b64 v[18:19], v1, v[18:21], s[10:11] offset:24 th:TH_ATOMIC_RETURN scope:SCOPE_SYS
	s_wait_loadcnt 0x0
	v_cmp_eq_u64_e32 vcc_lo, v[18:19], v[20:21]
	s_wait_xcnt 0x0
	v_mov_b64_e32 v[20:21], v[18:19]
	s_or_b32 s14, vcc_lo, s14
	s_delay_alu instid0(SALU_CYCLE_1)
	s_and_not1_b32 exec_lo, exec_lo, s14
	s_cbranch_execnz .LBB3_270
.LBB3_271:                              ;   in Loop: Header=BB3_5 Depth=1
	s_or_b32 exec_lo, exec_lo, s16
	v_readfirstlane_b32 s2, v40
	v_mov_b64_e32 v[6:7], 0
	s_delay_alu instid0(VALU_DEP_2)
	v_cmp_eq_u32_e64 s2, s2, v40
	s_and_saveexec_b32 s3, s2
	s_cbranch_execz .LBB3_277
; %bb.272:                              ;   in Loop: Header=BB3_5 Depth=1
	global_load_b64 v[20:21], v1, s[10:11] offset:24 scope:SCOPE_SYS
	s_wait_loadcnt 0x0
	global_inv scope:SCOPE_SYS
	s_clause 0x1
	global_load_b64 v[6:7], v1, s[10:11] offset:40
	global_load_b64 v[18:19], v1, s[10:11]
	s_mov_b32 s14, exec_lo
	s_wait_loadcnt 0x1
	v_and_b32_e32 v6, v6, v20
	v_and_b32_e32 v7, v7, v21
	s_delay_alu instid0(VALU_DEP_1) | instskip(SKIP_1) | instid1(VALU_DEP_1)
	v_mul_u64_e32 v[6:7], 24, v[6:7]
	s_wait_loadcnt 0x0
	v_add_nc_u64_e32 v[6:7], v[18:19], v[6:7]
	global_load_b64 v[18:19], v[6:7], off scope:SCOPE_SYS
	s_wait_xcnt 0x0
	s_wait_loadcnt 0x0
	global_atomic_cmpswap_b64 v[6:7], v1, v[18:21], s[10:11] offset:24 th:TH_ATOMIC_RETURN scope:SCOPE_SYS
	s_wait_loadcnt 0x0
	global_inv scope:SCOPE_SYS
	s_wait_xcnt 0x0
	v_cmpx_ne_u64_e64 v[6:7], v[20:21]
	s_cbranch_execz .LBB3_276
; %bb.273:                              ;   in Loop: Header=BB3_5 Depth=1
	s_mov_b32 s15, 0
.LBB3_274:                              ;   Parent Loop BB3_5 Depth=1
                                        ; =>  This Inner Loop Header: Depth=2
	s_sleep 1
	s_clause 0x1
	global_load_b64 v[18:19], v1, s[10:11] offset:40
	global_load_b64 v[22:23], v1, s[10:11]
	v_mov_b64_e32 v[20:21], v[6:7]
	s_wait_loadcnt 0x1
	s_delay_alu instid0(VALU_DEP_1) | instskip(SKIP_1) | instid1(VALU_DEP_1)
	v_and_b32_e32 v0, v18, v20
	s_wait_loadcnt 0x0
	v_mad_nc_u64_u32 v[6:7], v0, 24, v[22:23]
	s_delay_alu instid0(VALU_DEP_3) | instskip(NEXT) | instid1(VALU_DEP_1)
	v_and_b32_e32 v0, v19, v21
	v_mad_u32 v7, v0, 24, v7
	global_load_b64 v[18:19], v[6:7], off scope:SCOPE_SYS
	s_wait_xcnt 0x0
	s_wait_loadcnt 0x0
	global_atomic_cmpswap_b64 v[6:7], v1, v[18:21], s[10:11] offset:24 th:TH_ATOMIC_RETURN scope:SCOPE_SYS
	s_wait_loadcnt 0x0
	global_inv scope:SCOPE_SYS
	v_cmp_eq_u64_e32 vcc_lo, v[6:7], v[20:21]
	s_or_b32 s15, vcc_lo, s15
	s_wait_xcnt 0x0
	s_and_not1_b32 exec_lo, exec_lo, s15
	s_cbranch_execnz .LBB3_274
; %bb.275:                              ;   in Loop: Header=BB3_5 Depth=1
	s_or_b32 exec_lo, exec_lo, s15
.LBB3_276:                              ;   in Loop: Header=BB3_5 Depth=1
	s_delay_alu instid0(SALU_CYCLE_1)
	s_or_b32 exec_lo, exec_lo, s14
.LBB3_277:                              ;   in Loop: Header=BB3_5 Depth=1
	s_delay_alu instid0(SALU_CYCLE_1)
	s_or_b32 exec_lo, exec_lo, s3
	s_clause 0x1
	global_load_b64 v[18:19], v1, s[10:11] offset:40
	global_load_b128 v[20:23], v1, s[10:11]
	v_readfirstlane_b32 s14, v6
	v_readfirstlane_b32 s15, v7
	s_mov_b32 s3, exec_lo
	s_wait_loadcnt 0x1
	v_and_b32_e32 v18, s14, v18
	v_and_b32_e32 v19, s15, v19
	s_delay_alu instid0(VALU_DEP_1) | instskip(SKIP_1) | instid1(VALU_DEP_1)
	v_mul_u64_e32 v[6:7], 24, v[18:19]
	s_wait_loadcnt 0x0
	v_add_nc_u64_e32 v[6:7], v[20:21], v[6:7]
	s_wait_xcnt 0x0
	s_and_saveexec_b32 s16, s2
	s_cbranch_execz .LBB3_279
; %bb.278:                              ;   in Loop: Header=BB3_5 Depth=1
	v_mov_b32_e32 v0, s3
	global_store_b128 v[6:7], v[0:3], off offset:8
.LBB3_279:                              ;   in Loop: Header=BB3_5 Depth=1
	s_wait_xcnt 0x0
	s_or_b32 exec_lo, exec_lo, s16
	v_lshlrev_b64_e32 v[18:19], 12, v[18:19]
	v_mov_b64_e32 v[26:27], s[6:7]
	v_mov_b64_e32 v[24:25], s[4:5]
	v_and_or_b32 v16, 0xffffff1d, v16, 34
	s_delay_alu instid0(VALU_DEP_4) | instskip(SKIP_1) | instid1(VALU_DEP_2)
	v_add_nc_u64_e32 v[22:23], v[22:23], v[18:19]
	v_dual_mov_b32 v18, s27 :: v_dual_mov_b32 v19, v1
	v_readfirstlane_b32 s16, v22
	s_delay_alu instid0(VALU_DEP_3)
	v_readfirstlane_b32 s17, v23
	s_clause 0x3
	global_store_b128 v42, v[16:19], s[16:17]
	global_store_b128 v42, v[24:27], s[16:17] offset:16
	global_store_b128 v42, v[24:27], s[16:17] offset:32
	;; [unrolled: 1-line block ×3, first 2 shown]
	s_wait_xcnt 0x0
	s_and_saveexec_b32 s3, s2
	s_cbranch_execz .LBB3_287
; %bb.280:                              ;   in Loop: Header=BB3_5 Depth=1
	s_clause 0x1
	global_load_b64 v[26:27], v1, s[10:11] offset:32 scope:SCOPE_SYS
	global_load_b64 v[16:17], v1, s[10:11] offset:40
	s_mov_b32 s16, exec_lo
	v_dual_mov_b32 v24, s14 :: v_dual_mov_b32 v25, s15
	s_wait_loadcnt 0x0
	v_and_b32_e32 v17, s15, v17
	v_and_b32_e32 v16, s14, v16
	s_delay_alu instid0(VALU_DEP_1) | instskip(NEXT) | instid1(VALU_DEP_1)
	v_mul_u64_e32 v[16:17], 24, v[16:17]
	v_add_nc_u64_e32 v[20:21], v[20:21], v[16:17]
	global_store_b64 v[20:21], v[26:27], off
	global_wb scope:SCOPE_SYS
	s_wait_storecnt 0x0
	s_wait_xcnt 0x0
	global_atomic_cmpswap_b64 v[18:19], v1, v[24:27], s[10:11] offset:32 th:TH_ATOMIC_RETURN scope:SCOPE_SYS
	s_wait_loadcnt 0x0
	s_wait_xcnt 0x0
	v_cmpx_ne_u64_e64 v[18:19], v[26:27]
	s_cbranch_execz .LBB3_283
; %bb.281:                              ;   in Loop: Header=BB3_5 Depth=1
	s_mov_b32 s17, 0
.LBB3_282:                              ;   Parent Loop BB3_5 Depth=1
                                        ; =>  This Inner Loop Header: Depth=2
	v_dual_mov_b32 v16, s14 :: v_dual_mov_b32 v17, s15
	s_sleep 1
	global_store_b64 v[20:21], v[18:19], off
	global_wb scope:SCOPE_SYS
	s_wait_storecnt 0x0
	s_wait_xcnt 0x0
	global_atomic_cmpswap_b64 v[16:17], v1, v[16:19], s[10:11] offset:32 th:TH_ATOMIC_RETURN scope:SCOPE_SYS
	s_wait_loadcnt 0x0
	v_cmp_eq_u64_e32 vcc_lo, v[16:17], v[18:19]
	s_wait_xcnt 0x0
	v_mov_b64_e32 v[18:19], v[16:17]
	s_or_b32 s17, vcc_lo, s17
	s_delay_alu instid0(SALU_CYCLE_1)
	s_and_not1_b32 exec_lo, exec_lo, s17
	s_cbranch_execnz .LBB3_282
.LBB3_283:                              ;   in Loop: Header=BB3_5 Depth=1
	s_or_b32 exec_lo, exec_lo, s16
	global_load_b64 v[16:17], v1, s[10:11] offset:16
	s_mov_b32 s17, exec_lo
	s_mov_b32 s16, exec_lo
	v_mbcnt_lo_u32_b32 v0, s17, 0
	s_wait_xcnt 0x0
	s_delay_alu instid0(VALU_DEP_1)
	v_cmpx_eq_u32_e32 0, v0
	s_cbranch_execz .LBB3_285
; %bb.284:                              ;   in Loop: Header=BB3_5 Depth=1
	s_bcnt1_i32_b32 s17, s17
	s_delay_alu instid0(SALU_CYCLE_1)
	v_mov_b32_e32 v0, s17
	global_wb scope:SCOPE_SYS
	s_wait_loadcnt 0x0
	s_wait_storecnt 0x0
	global_atomic_add_u64 v[16:17], v[0:1], off offset:8 scope:SCOPE_SYS
.LBB3_285:                              ;   in Loop: Header=BB3_5 Depth=1
	s_wait_xcnt 0x0
	s_or_b32 exec_lo, exec_lo, s16
	s_wait_loadcnt 0x0
	global_load_b64 v[18:19], v[16:17], off offset:16
	s_wait_loadcnt 0x0
	v_cmp_eq_u64_e32 vcc_lo, 0, v[18:19]
	s_cbranch_vccnz .LBB3_287
; %bb.286:                              ;   in Loop: Header=BB3_5 Depth=1
	global_load_b32 v0, v[16:17], off offset:24
	s_wait_loadcnt 0x0
	v_readfirstlane_b32 s16, v0
	global_wb scope:SCOPE_SYS
	s_wait_storecnt 0x0
	s_wait_xcnt 0x0
	global_store_b64 v[18:19], v[0:1], off scope:SCOPE_SYS
	s_and_b32 m0, s16, 0xffffff
	s_sendmsg sendmsg(MSG_INTERRUPT)
.LBB3_287:                              ;   in Loop: Header=BB3_5 Depth=1
	s_wait_xcnt 0x0
	s_or_b32 exec_lo, exec_lo, s3
	v_mov_b32_e32 v43, v1
	s_delay_alu instid0(VALU_DEP_1)
	v_add_nc_u64_e32 v[16:17], v[22:23], v[42:43]
	s_branch .LBB3_291
.LBB3_288:                              ;   in Loop: Header=BB3_291 Depth=2
	s_wait_xcnt 0x0
	s_or_b32 exec_lo, exec_lo, s3
	s_delay_alu instid0(VALU_DEP_1)
	v_readfirstlane_b32 s3, v0
	s_cmp_eq_u32 s3, 0
	s_cbranch_scc1 .LBB3_290
; %bb.289:                              ;   in Loop: Header=BB3_291 Depth=2
	s_sleep 1
	s_cbranch_execnz .LBB3_291
	s_branch .LBB3_293
.LBB3_290:                              ;   in Loop: Header=BB3_5 Depth=1
	s_branch .LBB3_293
.LBB3_291:                              ;   Parent Loop BB3_5 Depth=1
                                        ; =>  This Inner Loop Header: Depth=2
	v_mov_b32_e32 v0, 1
	s_and_saveexec_b32 s3, s2
	s_cbranch_execz .LBB3_288
; %bb.292:                              ;   in Loop: Header=BB3_291 Depth=2
	global_load_b32 v0, v[6:7], off offset:20 scope:SCOPE_SYS
	s_wait_loadcnt 0x0
	global_inv scope:SCOPE_SYS
	v_and_b32_e32 v0, 1, v0
	s_branch .LBB3_288
.LBB3_293:                              ;   in Loop: Header=BB3_5 Depth=1
	global_load_b64 v[46:47], v[16:17], off
	s_wait_xcnt 0x0
	s_and_saveexec_b32 s16, s2
	s_cbranch_execz .LBB3_297
; %bb.294:                              ;   in Loop: Header=BB3_5 Depth=1
	s_clause 0x2
	global_load_b64 v[6:7], v1, s[10:11] offset:40
	global_load_b64 v[20:21], v1, s[10:11] offset:24 scope:SCOPE_SYS
	global_load_b64 v[16:17], v1, s[10:11]
	s_wait_loadcnt 0x2
	v_readfirstlane_b32 s18, v6
	v_readfirstlane_b32 s19, v7
	s_add_nc_u64 s[2:3], s[18:19], 1
	s_delay_alu instid0(SALU_CYCLE_1) | instskip(NEXT) | instid1(SALU_CYCLE_1)
	s_add_nc_u64 s[14:15], s[2:3], s[14:15]
	s_cmp_eq_u64 s[14:15], 0
	s_cselect_b32 s3, s3, s15
	s_cselect_b32 s2, s2, s14
	s_delay_alu instid0(SALU_CYCLE_1) | instskip(SKIP_1) | instid1(SALU_CYCLE_1)
	v_dual_mov_b32 v19, s3 :: v_dual_mov_b32 v18, s2
	s_and_b64 s[14:15], s[2:3], s[18:19]
	s_mul_u64 s[14:15], s[14:15], 24
	s_wait_loadcnt 0x0
	v_add_nc_u64_e32 v[6:7], s[14:15], v[16:17]
	global_store_b64 v[6:7], v[20:21], off
	global_wb scope:SCOPE_SYS
	s_wait_storecnt 0x0
	s_wait_xcnt 0x0
	global_atomic_cmpswap_b64 v[18:19], v1, v[18:21], s[10:11] offset:24 th:TH_ATOMIC_RETURN scope:SCOPE_SYS
	s_wait_loadcnt 0x0
	v_cmp_ne_u64_e32 vcc_lo, v[18:19], v[20:21]
	s_wait_xcnt 0x0
	s_and_b32 exec_lo, exec_lo, vcc_lo
	s_cbranch_execz .LBB3_297
; %bb.295:                              ;   in Loop: Header=BB3_5 Depth=1
	s_mov_b32 s14, 0
.LBB3_296:                              ;   Parent Loop BB3_5 Depth=1
                                        ; =>  This Inner Loop Header: Depth=2
	v_dual_mov_b32 v16, s2 :: v_dual_mov_b32 v17, s3
	s_sleep 1
	global_store_b64 v[6:7], v[18:19], off
	global_wb scope:SCOPE_SYS
	s_wait_storecnt 0x0
	s_wait_xcnt 0x0
	global_atomic_cmpswap_b64 v[16:17], v1, v[16:19], s[10:11] offset:24 th:TH_ATOMIC_RETURN scope:SCOPE_SYS
	s_wait_loadcnt 0x0
	v_cmp_eq_u64_e32 vcc_lo, v[16:17], v[18:19]
	s_wait_xcnt 0x0
	v_mov_b64_e32 v[18:19], v[16:17]
	s_or_b32 s14, vcc_lo, s14
	s_delay_alu instid0(SALU_CYCLE_1)
	s_and_not1_b32 exec_lo, exec_lo, s14
	s_cbranch_execnz .LBB3_296
.LBB3_297:                              ;   in Loop: Header=BB3_5 Depth=1
	s_or_b32 exec_lo, exec_lo, s16
	v_readfirstlane_b32 s2, v40
	v_mov_b64_e32 v[6:7], 0
	s_delay_alu instid0(VALU_DEP_2)
	v_cmp_eq_u32_e64 s2, s2, v40
	s_and_saveexec_b32 s3, s2
	s_cbranch_execz .LBB3_303
; %bb.298:                              ;   in Loop: Header=BB3_5 Depth=1
	global_load_b64 v[18:19], v1, s[10:11] offset:24 scope:SCOPE_SYS
	s_wait_loadcnt 0x0
	global_inv scope:SCOPE_SYS
	s_clause 0x1
	global_load_b64 v[6:7], v1, s[10:11] offset:40
	global_load_b64 v[16:17], v1, s[10:11]
	s_mov_b32 s14, exec_lo
	s_wait_loadcnt 0x1
	v_and_b32_e32 v6, v6, v18
	v_and_b32_e32 v7, v7, v19
	s_delay_alu instid0(VALU_DEP_1) | instskip(SKIP_1) | instid1(VALU_DEP_1)
	v_mul_u64_e32 v[6:7], 24, v[6:7]
	s_wait_loadcnt 0x0
	v_add_nc_u64_e32 v[6:7], v[16:17], v[6:7]
	global_load_b64 v[16:17], v[6:7], off scope:SCOPE_SYS
	s_wait_xcnt 0x0
	s_wait_loadcnt 0x0
	global_atomic_cmpswap_b64 v[6:7], v1, v[16:19], s[10:11] offset:24 th:TH_ATOMIC_RETURN scope:SCOPE_SYS
	s_wait_loadcnt 0x0
	global_inv scope:SCOPE_SYS
	s_wait_xcnt 0x0
	v_cmpx_ne_u64_e64 v[6:7], v[18:19]
	s_cbranch_execz .LBB3_302
; %bb.299:                              ;   in Loop: Header=BB3_5 Depth=1
	s_mov_b32 s15, 0
.LBB3_300:                              ;   Parent Loop BB3_5 Depth=1
                                        ; =>  This Inner Loop Header: Depth=2
	s_sleep 1
	s_clause 0x1
	global_load_b64 v[16:17], v1, s[10:11] offset:40
	global_load_b64 v[20:21], v1, s[10:11]
	v_mov_b64_e32 v[18:19], v[6:7]
	s_wait_loadcnt 0x1
	s_delay_alu instid0(VALU_DEP_1) | instskip(SKIP_1) | instid1(VALU_DEP_1)
	v_and_b32_e32 v0, v16, v18
	s_wait_loadcnt 0x0
	v_mad_nc_u64_u32 v[6:7], v0, 24, v[20:21]
	s_delay_alu instid0(VALU_DEP_3) | instskip(NEXT) | instid1(VALU_DEP_1)
	v_and_b32_e32 v0, v17, v19
	v_mad_u32 v7, v0, 24, v7
	global_load_b64 v[16:17], v[6:7], off scope:SCOPE_SYS
	s_wait_xcnt 0x0
	s_wait_loadcnt 0x0
	global_atomic_cmpswap_b64 v[6:7], v1, v[16:19], s[10:11] offset:24 th:TH_ATOMIC_RETURN scope:SCOPE_SYS
	s_wait_loadcnt 0x0
	global_inv scope:SCOPE_SYS
	v_cmp_eq_u64_e32 vcc_lo, v[6:7], v[18:19]
	s_or_b32 s15, vcc_lo, s15
	s_wait_xcnt 0x0
	s_and_not1_b32 exec_lo, exec_lo, s15
	s_cbranch_execnz .LBB3_300
; %bb.301:                              ;   in Loop: Header=BB3_5 Depth=1
	s_or_b32 exec_lo, exec_lo, s15
.LBB3_302:                              ;   in Loop: Header=BB3_5 Depth=1
	s_delay_alu instid0(SALU_CYCLE_1)
	s_or_b32 exec_lo, exec_lo, s14
.LBB3_303:                              ;   in Loop: Header=BB3_5 Depth=1
	s_delay_alu instid0(SALU_CYCLE_1)
	s_or_b32 exec_lo, exec_lo, s3
	s_clause 0x1
	global_load_b64 v[20:21], v1, s[10:11] offset:40
	global_load_b128 v[16:19], v1, s[10:11]
	v_readfirstlane_b32 s14, v6
	v_readfirstlane_b32 s15, v7
	s_mov_b32 s3, exec_lo
	s_wait_loadcnt 0x1
	v_and_b32_e32 v6, s14, v20
	v_and_b32_e32 v7, s15, v21
	s_delay_alu instid0(VALU_DEP_1) | instskip(SKIP_1) | instid1(VALU_DEP_1)
	v_mul_u64_e32 v[20:21], 24, v[6:7]
	s_wait_loadcnt 0x0
	v_add_nc_u64_e32 v[20:21], v[16:17], v[20:21]
	s_wait_xcnt 0x0
	s_and_saveexec_b32 s16, s2
	s_cbranch_execz .LBB3_305
; %bb.304:                              ;   in Loop: Header=BB3_5 Depth=1
	v_mov_b32_e32 v0, s3
	global_store_b128 v[20:21], v[0:3], off offset:8
.LBB3_305:                              ;   in Loop: Header=BB3_5 Depth=1
	s_wait_xcnt 0x0
	s_or_b32 exec_lo, exec_lo, s16
	v_lshlrev_b64_e32 v[6:7], 12, v[6:7]
	v_mov_b64_e32 v[26:27], s[6:7]
	v_mov_b64_e32 v[24:25], s[4:5]
	v_mov_b32_e32 v5, v1
	s_delay_alu instid0(VALU_DEP_4) | instskip(SKIP_1) | instid1(VALU_DEP_2)
	v_add_nc_u64_e32 v[22:23], v[18:19], v[6:7]
	v_dual_mov_b32 v6, v1 :: v_dual_mov_b32 v7, v1
	v_readfirstlane_b32 s16, v22
	s_delay_alu instid0(VALU_DEP_3)
	v_readfirstlane_b32 s17, v23
	s_clause 0x3
	global_store_b128 v42, v[4:7], s[16:17]
	global_store_b128 v42, v[24:27], s[16:17] offset:16
	global_store_b128 v42, v[24:27], s[16:17] offset:32
	;; [unrolled: 1-line block ×3, first 2 shown]
	s_wait_xcnt 0x0
	s_and_saveexec_b32 s3, s2
	s_cbranch_execz .LBB3_313
; %bb.306:                              ;   in Loop: Header=BB3_5 Depth=1
	s_clause 0x1
	global_load_b64 v[26:27], v1, s[10:11] offset:32 scope:SCOPE_SYS
	global_load_b64 v[6:7], v1, s[10:11] offset:40
	s_mov_b32 s16, exec_lo
	v_dual_mov_b32 v24, s14 :: v_dual_mov_b32 v25, s15
	s_wait_loadcnt 0x0
	v_and_b32_e32 v7, s15, v7
	v_and_b32_e32 v6, s14, v6
	s_delay_alu instid0(VALU_DEP_1) | instskip(NEXT) | instid1(VALU_DEP_1)
	v_mul_u64_e32 v[6:7], 24, v[6:7]
	v_add_nc_u64_e32 v[6:7], v[16:17], v[6:7]
	global_store_b64 v[6:7], v[26:27], off
	global_wb scope:SCOPE_SYS
	s_wait_storecnt 0x0
	s_wait_xcnt 0x0
	global_atomic_cmpswap_b64 v[18:19], v1, v[24:27], s[10:11] offset:32 th:TH_ATOMIC_RETURN scope:SCOPE_SYS
	s_wait_loadcnt 0x0
	s_wait_xcnt 0x0
	v_cmpx_ne_u64_e64 v[18:19], v[26:27]
	s_cbranch_execz .LBB3_309
; %bb.307:                              ;   in Loop: Header=BB3_5 Depth=1
	s_mov_b32 s17, 0
.LBB3_308:                              ;   Parent Loop BB3_5 Depth=1
                                        ; =>  This Inner Loop Header: Depth=2
	v_dual_mov_b32 v16, s14 :: v_dual_mov_b32 v17, s15
	s_sleep 1
	global_store_b64 v[6:7], v[18:19], off
	global_wb scope:SCOPE_SYS
	s_wait_storecnt 0x0
	s_wait_xcnt 0x0
	global_atomic_cmpswap_b64 v[16:17], v1, v[16:19], s[10:11] offset:32 th:TH_ATOMIC_RETURN scope:SCOPE_SYS
	s_wait_loadcnt 0x0
	v_cmp_eq_u64_e32 vcc_lo, v[16:17], v[18:19]
	s_wait_xcnt 0x0
	v_mov_b64_e32 v[18:19], v[16:17]
	s_or_b32 s17, vcc_lo, s17
	s_delay_alu instid0(SALU_CYCLE_1)
	s_and_not1_b32 exec_lo, exec_lo, s17
	s_cbranch_execnz .LBB3_308
.LBB3_309:                              ;   in Loop: Header=BB3_5 Depth=1
	s_or_b32 exec_lo, exec_lo, s16
	global_load_b64 v[6:7], v1, s[10:11] offset:16
	s_mov_b32 s17, exec_lo
	s_mov_b32 s16, exec_lo
	v_mbcnt_lo_u32_b32 v0, s17, 0
	s_wait_xcnt 0x0
	s_delay_alu instid0(VALU_DEP_1)
	v_cmpx_eq_u32_e32 0, v0
	s_cbranch_execz .LBB3_311
; %bb.310:                              ;   in Loop: Header=BB3_5 Depth=1
	s_bcnt1_i32_b32 s17, s17
	s_delay_alu instid0(SALU_CYCLE_1)
	v_mov_b32_e32 v0, s17
	global_wb scope:SCOPE_SYS
	s_wait_loadcnt 0x0
	s_wait_storecnt 0x0
	global_atomic_add_u64 v[6:7], v[0:1], off offset:8 scope:SCOPE_SYS
.LBB3_311:                              ;   in Loop: Header=BB3_5 Depth=1
	s_wait_xcnt 0x0
	s_or_b32 exec_lo, exec_lo, s16
	s_wait_loadcnt 0x0
	global_load_b64 v[16:17], v[6:7], off offset:16
	s_wait_loadcnt 0x0
	v_cmp_eq_u64_e32 vcc_lo, 0, v[16:17]
	s_cbranch_vccnz .LBB3_313
; %bb.312:                              ;   in Loop: Header=BB3_5 Depth=1
	global_load_b32 v0, v[6:7], off offset:24
	s_wait_loadcnt 0x0
	v_readfirstlane_b32 s16, v0
	global_wb scope:SCOPE_SYS
	s_wait_storecnt 0x0
	s_wait_xcnt 0x0
	global_store_b64 v[16:17], v[0:1], off scope:SCOPE_SYS
	s_and_b32 m0, s16, 0xffffff
	s_sendmsg sendmsg(MSG_INTERRUPT)
.LBB3_313:                              ;   in Loop: Header=BB3_5 Depth=1
	s_wait_xcnt 0x0
	s_or_b32 exec_lo, exec_lo, s3
	v_mov_b32_e32 v43, v1
	s_delay_alu instid0(VALU_DEP_1)
	v_add_nc_u64_e32 v[6:7], v[22:23], v[42:43]
	s_branch .LBB3_317
.LBB3_314:                              ;   in Loop: Header=BB3_317 Depth=2
	s_wait_xcnt 0x0
	s_or_b32 exec_lo, exec_lo, s3
	s_delay_alu instid0(VALU_DEP_1)
	v_readfirstlane_b32 s3, v0
	s_cmp_eq_u32 s3, 0
	s_cbranch_scc1 .LBB3_316
; %bb.315:                              ;   in Loop: Header=BB3_317 Depth=2
	s_sleep 1
	s_cbranch_execnz .LBB3_317
	s_branch .LBB3_319
.LBB3_316:                              ;   in Loop: Header=BB3_5 Depth=1
	s_branch .LBB3_319
.LBB3_317:                              ;   Parent Loop BB3_5 Depth=1
                                        ; =>  This Inner Loop Header: Depth=2
	v_mov_b32_e32 v0, 1
	s_and_saveexec_b32 s3, s2
	s_cbranch_execz .LBB3_314
; %bb.318:                              ;   in Loop: Header=BB3_317 Depth=2
	global_load_b32 v0, v[20:21], off offset:20 scope:SCOPE_SYS
	s_wait_loadcnt 0x0
	global_inv scope:SCOPE_SYS
	v_and_b32_e32 v0, 1, v0
	s_branch .LBB3_314
.LBB3_319:                              ;   in Loop: Header=BB3_5 Depth=1
	global_load_b64 v[20:21], v[6:7], off
	s_wait_xcnt 0x0
	s_and_saveexec_b32 s16, s2
	s_cbranch_execz .LBB3_323
; %bb.320:                              ;   in Loop: Header=BB3_5 Depth=1
	s_clause 0x2
	global_load_b64 v[6:7], v1, s[10:11] offset:40
	global_load_b64 v[24:25], v1, s[10:11] offset:24 scope:SCOPE_SYS
	global_load_b64 v[16:17], v1, s[10:11]
	s_wait_loadcnt 0x2
	v_readfirstlane_b32 s18, v6
	v_readfirstlane_b32 s19, v7
	s_add_nc_u64 s[2:3], s[18:19], 1
	s_delay_alu instid0(SALU_CYCLE_1) | instskip(NEXT) | instid1(SALU_CYCLE_1)
	s_add_nc_u64 s[14:15], s[2:3], s[14:15]
	s_cmp_eq_u64 s[14:15], 0
	s_cselect_b32 s3, s3, s15
	s_cselect_b32 s2, s2, s14
	s_delay_alu instid0(SALU_CYCLE_1) | instskip(SKIP_1) | instid1(SALU_CYCLE_1)
	v_dual_mov_b32 v23, s3 :: v_dual_mov_b32 v22, s2
	s_and_b64 s[14:15], s[2:3], s[18:19]
	s_mul_u64 s[14:15], s[14:15], 24
	s_wait_loadcnt 0x0
	v_add_nc_u64_e32 v[6:7], s[14:15], v[16:17]
	global_store_b64 v[6:7], v[24:25], off
	global_wb scope:SCOPE_SYS
	s_wait_storecnt 0x0
	s_wait_xcnt 0x0
	global_atomic_cmpswap_b64 v[18:19], v1, v[22:25], s[10:11] offset:24 th:TH_ATOMIC_RETURN scope:SCOPE_SYS
	s_wait_loadcnt 0x0
	v_cmp_ne_u64_e32 vcc_lo, v[18:19], v[24:25]
	s_wait_xcnt 0x0
	s_and_b32 exec_lo, exec_lo, vcc_lo
	s_cbranch_execz .LBB3_323
; %bb.321:                              ;   in Loop: Header=BB3_5 Depth=1
	s_mov_b32 s14, 0
.LBB3_322:                              ;   Parent Loop BB3_5 Depth=1
                                        ; =>  This Inner Loop Header: Depth=2
	v_dual_mov_b32 v16, s2 :: v_dual_mov_b32 v17, s3
	s_sleep 1
	global_store_b64 v[6:7], v[18:19], off
	global_wb scope:SCOPE_SYS
	s_wait_storecnt 0x0
	s_wait_xcnt 0x0
	global_atomic_cmpswap_b64 v[16:17], v1, v[16:19], s[10:11] offset:24 th:TH_ATOMIC_RETURN scope:SCOPE_SYS
	s_wait_loadcnt 0x0
	v_cmp_eq_u64_e32 vcc_lo, v[16:17], v[18:19]
	s_wait_xcnt 0x0
	v_mov_b64_e32 v[18:19], v[16:17]
	s_or_b32 s14, vcc_lo, s14
	s_delay_alu instid0(SALU_CYCLE_1)
	s_and_not1_b32 exec_lo, exec_lo, s14
	s_cbranch_execnz .LBB3_322
.LBB3_323:                              ;   in Loop: Header=BB3_5 Depth=1
	s_or_b32 exec_lo, exec_lo, s16
	s_delay_alu instid0(SALU_CYCLE_1)
	s_and_b32 vcc_lo, exec_lo, s25
	s_cbranch_vccz .LBB3_481
; %bb.324:                              ;   in Loop: Header=BB3_5 Depth=1
	s_wait_loadcnt 0x0
	v_dual_mov_b32 v17, v21 :: v_dual_bitop2_b32 v6, 2, v20 bitop3:0x40
	v_and_b32_e32 v16, -3, v20
	s_mov_b64 s[16:17], 9
	s_get_pc_i64 s[14:15]
	s_add_nc_u64 s[14:15], s[14:15], .str.5@rel64+4
	s_branch .LBB3_326
.LBB3_325:                              ;   in Loop: Header=BB3_326 Depth=2
	s_or_b32 exec_lo, exec_lo, s22
	s_sub_nc_u64 s[16:17], s[16:17], s[18:19]
	s_add_nc_u64 s[14:15], s[14:15], s[18:19]
	s_cmp_lg_u64 s[16:17], 0
	s_cbranch_scc0 .LBB3_401
.LBB3_326:                              ;   Parent Loop BB3_5 Depth=1
                                        ; =>  This Loop Header: Depth=2
                                        ;       Child Loop BB3_329 Depth 3
                                        ;       Child Loop BB3_336 Depth 3
	;; [unrolled: 1-line block ×11, first 2 shown]
	v_min_u64 v[18:19], s[16:17], 56
	v_cmp_gt_u64_e64 s2, s[16:17], 7
	s_and_b32 vcc_lo, exec_lo, s2
	v_readfirstlane_b32 s18, v18
	v_readfirstlane_b32 s19, v19
	s_cbranch_vccnz .LBB3_331
; %bb.327:                              ;   in Loop: Header=BB3_326 Depth=2
	v_mov_b64_e32 v[18:19], 0
	s_cmp_eq_u64 s[16:17], 0
	s_cbranch_scc1 .LBB3_330
; %bb.328:                              ;   in Loop: Header=BB3_326 Depth=2
	s_mov_b64 s[2:3], 0
	s_mov_b64 s[20:21], 0
.LBB3_329:                              ;   Parent Loop BB3_5 Depth=1
                                        ;     Parent Loop BB3_326 Depth=2
                                        ; =>    This Inner Loop Header: Depth=3
	s_wait_xcnt 0x0
	s_add_nc_u64 s[22:23], s[14:15], s[20:21]
	s_add_nc_u64 s[20:21], s[20:21], 1
	global_load_u8 v0, v1, s[22:23]
	s_cmp_lg_u32 s18, s20
	s_wait_loadcnt 0x0
	v_and_b32_e32 v0, 0xffff, v0
	s_delay_alu instid0(VALU_DEP_1) | instskip(SKIP_1) | instid1(VALU_DEP_1)
	v_lshlrev_b64_e32 v[22:23], s2, v[0:1]
	s_add_nc_u64 s[2:3], s[2:3], 8
	v_or_b32_e32 v18, v22, v18
	s_delay_alu instid0(VALU_DEP_2)
	v_or_b32_e32 v19, v23, v19
	s_cbranch_scc1 .LBB3_329
.LBB3_330:                              ;   in Loop: Header=BB3_326 Depth=2
	s_mov_b64 s[2:3], s[14:15]
	s_mov_b32 s28, 0
	s_cbranch_execz .LBB3_332
	s_branch .LBB3_333
.LBB3_331:                              ;   in Loop: Header=BB3_326 Depth=2
	s_add_nc_u64 s[2:3], s[14:15], 8
	s_mov_b32 s28, 0
.LBB3_332:                              ;   in Loop: Header=BB3_326 Depth=2
	global_load_b64 v[18:19], v1, s[14:15]
	s_add_co_i32 s28, s18, -8
.LBB3_333:                              ;   in Loop: Header=BB3_326 Depth=2
	s_delay_alu instid0(SALU_CYCLE_1)
	s_cmp_gt_u32 s28, 7
	s_cbranch_scc1 .LBB3_338
; %bb.334:                              ;   in Loop: Header=BB3_326 Depth=2
	v_mov_b64_e32 v[22:23], 0
	s_cmp_eq_u32 s28, 0
	s_cbranch_scc1 .LBB3_337
; %bb.335:                              ;   in Loop: Header=BB3_326 Depth=2
	s_mov_b64 s[20:21], 0
	s_wait_xcnt 0x0
	s_mov_b64 s[22:23], 0
.LBB3_336:                              ;   Parent Loop BB3_5 Depth=1
                                        ;     Parent Loop BB3_326 Depth=2
                                        ; =>    This Inner Loop Header: Depth=3
	s_wait_xcnt 0x0
	s_add_nc_u64 s[30:31], s[2:3], s[22:23]
	s_add_nc_u64 s[22:23], s[22:23], 1
	global_load_u8 v0, v1, s[30:31]
	s_cmp_lg_u32 s28, s22
	s_wait_loadcnt 0x0
	v_and_b32_e32 v0, 0xffff, v0
	s_delay_alu instid0(VALU_DEP_1) | instskip(SKIP_1) | instid1(VALU_DEP_1)
	v_lshlrev_b64_e32 v[24:25], s20, v[0:1]
	s_add_nc_u64 s[20:21], s[20:21], 8
	v_or_b32_e32 v22, v24, v22
	s_delay_alu instid0(VALU_DEP_2)
	v_or_b32_e32 v23, v25, v23
	s_cbranch_scc1 .LBB3_336
.LBB3_337:                              ;   in Loop: Header=BB3_326 Depth=2
	s_wait_xcnt 0x0
	s_mov_b64 s[20:21], s[2:3]
	s_mov_b32 s29, 0
	s_cbranch_execz .LBB3_339
	s_branch .LBB3_340
.LBB3_338:                              ;   in Loop: Header=BB3_326 Depth=2
	s_add_nc_u64 s[20:21], s[2:3], 8
	s_wait_xcnt 0x0
                                        ; implicit-def: $vgpr22_vgpr23
	s_mov_b32 s29, 0
.LBB3_339:                              ;   in Loop: Header=BB3_326 Depth=2
	global_load_b64 v[22:23], v1, s[2:3]
	s_add_co_i32 s29, s28, -8
.LBB3_340:                              ;   in Loop: Header=BB3_326 Depth=2
	s_delay_alu instid0(SALU_CYCLE_1)
	s_cmp_gt_u32 s29, 7
	s_cbranch_scc1 .LBB3_345
; %bb.341:                              ;   in Loop: Header=BB3_326 Depth=2
	v_mov_b64_e32 v[24:25], 0
	s_cmp_eq_u32 s29, 0
	s_cbranch_scc1 .LBB3_344
; %bb.342:                              ;   in Loop: Header=BB3_326 Depth=2
	s_wait_xcnt 0x0
	s_mov_b64 s[2:3], 0
	s_mov_b64 s[22:23], 0
.LBB3_343:                              ;   Parent Loop BB3_5 Depth=1
                                        ;     Parent Loop BB3_326 Depth=2
                                        ; =>    This Inner Loop Header: Depth=3
	s_wait_xcnt 0x0
	s_add_nc_u64 s[30:31], s[20:21], s[22:23]
	s_add_nc_u64 s[22:23], s[22:23], 1
	global_load_u8 v0, v1, s[30:31]
	s_cmp_lg_u32 s29, s22
	s_wait_loadcnt 0x0
	v_and_b32_e32 v0, 0xffff, v0
	s_delay_alu instid0(VALU_DEP_1) | instskip(SKIP_1) | instid1(VALU_DEP_1)
	v_lshlrev_b64_e32 v[26:27], s2, v[0:1]
	s_add_nc_u64 s[2:3], s[2:3], 8
	v_or_b32_e32 v24, v26, v24
	s_delay_alu instid0(VALU_DEP_2)
	v_or_b32_e32 v25, v27, v25
	s_cbranch_scc1 .LBB3_343
.LBB3_344:                              ;   in Loop: Header=BB3_326 Depth=2
	s_wait_xcnt 0x0
	s_mov_b64 s[2:3], s[20:21]
	s_mov_b32 s28, 0
	s_cbranch_execz .LBB3_346
	s_branch .LBB3_347
.LBB3_345:                              ;   in Loop: Header=BB3_326 Depth=2
	s_wait_xcnt 0x0
	s_add_nc_u64 s[2:3], s[20:21], 8
	s_mov_b32 s28, 0
.LBB3_346:                              ;   in Loop: Header=BB3_326 Depth=2
	global_load_b64 v[24:25], v1, s[20:21]
	s_add_co_i32 s28, s29, -8
.LBB3_347:                              ;   in Loop: Header=BB3_326 Depth=2
	s_delay_alu instid0(SALU_CYCLE_1)
	s_cmp_gt_u32 s28, 7
	s_cbranch_scc1 .LBB3_352
; %bb.348:                              ;   in Loop: Header=BB3_326 Depth=2
	v_mov_b64_e32 v[26:27], 0
	s_cmp_eq_u32 s28, 0
	s_cbranch_scc1 .LBB3_351
; %bb.349:                              ;   in Loop: Header=BB3_326 Depth=2
	s_wait_xcnt 0x0
	s_mov_b64 s[20:21], 0
	s_mov_b64 s[22:23], 0
.LBB3_350:                              ;   Parent Loop BB3_5 Depth=1
                                        ;     Parent Loop BB3_326 Depth=2
                                        ; =>    This Inner Loop Header: Depth=3
	s_wait_xcnt 0x0
	s_add_nc_u64 s[30:31], s[2:3], s[22:23]
	s_add_nc_u64 s[22:23], s[22:23], 1
	global_load_u8 v0, v1, s[30:31]
	s_cmp_lg_u32 s28, s22
	s_wait_loadcnt 0x0
	v_and_b32_e32 v0, 0xffff, v0
	s_delay_alu instid0(VALU_DEP_1) | instskip(SKIP_1) | instid1(VALU_DEP_1)
	v_lshlrev_b64_e32 v[28:29], s20, v[0:1]
	s_add_nc_u64 s[20:21], s[20:21], 8
	v_or_b32_e32 v26, v28, v26
	s_delay_alu instid0(VALU_DEP_2)
	v_or_b32_e32 v27, v29, v27
	s_cbranch_scc1 .LBB3_350
.LBB3_351:                              ;   in Loop: Header=BB3_326 Depth=2
	s_wait_xcnt 0x0
	s_mov_b64 s[20:21], s[2:3]
	s_mov_b32 s29, 0
	s_cbranch_execz .LBB3_353
	s_branch .LBB3_354
.LBB3_352:                              ;   in Loop: Header=BB3_326 Depth=2
	s_wait_xcnt 0x0
	s_add_nc_u64 s[20:21], s[2:3], 8
                                        ; implicit-def: $vgpr26_vgpr27
	s_mov_b32 s29, 0
.LBB3_353:                              ;   in Loop: Header=BB3_326 Depth=2
	global_load_b64 v[26:27], v1, s[2:3]
	s_add_co_i32 s29, s28, -8
.LBB3_354:                              ;   in Loop: Header=BB3_326 Depth=2
	s_delay_alu instid0(SALU_CYCLE_1)
	s_cmp_gt_u32 s29, 7
	s_cbranch_scc1 .LBB3_359
; %bb.355:                              ;   in Loop: Header=BB3_326 Depth=2
	v_mov_b64_e32 v[28:29], 0
	s_cmp_eq_u32 s29, 0
	s_cbranch_scc1 .LBB3_358
; %bb.356:                              ;   in Loop: Header=BB3_326 Depth=2
	s_wait_xcnt 0x0
	s_mov_b64 s[2:3], 0
	s_mov_b64 s[22:23], 0
.LBB3_357:                              ;   Parent Loop BB3_5 Depth=1
                                        ;     Parent Loop BB3_326 Depth=2
                                        ; =>    This Inner Loop Header: Depth=3
	s_wait_xcnt 0x0
	s_add_nc_u64 s[30:31], s[20:21], s[22:23]
	s_add_nc_u64 s[22:23], s[22:23], 1
	global_load_u8 v0, v1, s[30:31]
	s_cmp_lg_u32 s29, s22
	s_wait_loadcnt 0x0
	v_and_b32_e32 v0, 0xffff, v0
	s_delay_alu instid0(VALU_DEP_1) | instskip(SKIP_1) | instid1(VALU_DEP_1)
	v_lshlrev_b64_e32 v[30:31], s2, v[0:1]
	s_add_nc_u64 s[2:3], s[2:3], 8
	v_or_b32_e32 v28, v30, v28
	s_delay_alu instid0(VALU_DEP_2)
	v_or_b32_e32 v29, v31, v29
	s_cbranch_scc1 .LBB3_357
.LBB3_358:                              ;   in Loop: Header=BB3_326 Depth=2
	s_wait_xcnt 0x0
	s_mov_b64 s[2:3], s[20:21]
	s_mov_b32 s28, 0
	s_cbranch_execz .LBB3_360
	s_branch .LBB3_361
.LBB3_359:                              ;   in Loop: Header=BB3_326 Depth=2
	s_wait_xcnt 0x0
	s_add_nc_u64 s[2:3], s[20:21], 8
	s_mov_b32 s28, 0
.LBB3_360:                              ;   in Loop: Header=BB3_326 Depth=2
	global_load_b64 v[28:29], v1, s[20:21]
	s_add_co_i32 s28, s29, -8
.LBB3_361:                              ;   in Loop: Header=BB3_326 Depth=2
	s_delay_alu instid0(SALU_CYCLE_1)
	s_cmp_gt_u32 s28, 7
	s_cbranch_scc1 .LBB3_366
; %bb.362:                              ;   in Loop: Header=BB3_326 Depth=2
	v_mov_b64_e32 v[30:31], 0
	s_cmp_eq_u32 s28, 0
	s_cbranch_scc1 .LBB3_365
; %bb.363:                              ;   in Loop: Header=BB3_326 Depth=2
	s_wait_xcnt 0x0
	s_mov_b64 s[20:21], 0
	s_mov_b64 s[22:23], 0
.LBB3_364:                              ;   Parent Loop BB3_5 Depth=1
                                        ;     Parent Loop BB3_326 Depth=2
                                        ; =>    This Inner Loop Header: Depth=3
	s_wait_xcnt 0x0
	s_add_nc_u64 s[30:31], s[2:3], s[22:23]
	s_add_nc_u64 s[22:23], s[22:23], 1
	global_load_u8 v0, v1, s[30:31]
	s_cmp_lg_u32 s28, s22
	s_wait_loadcnt 0x0
	v_and_b32_e32 v0, 0xffff, v0
	s_delay_alu instid0(VALU_DEP_1) | instskip(SKIP_1) | instid1(VALU_DEP_1)
	v_lshlrev_b64_e32 v[32:33], s20, v[0:1]
	s_add_nc_u64 s[20:21], s[20:21], 8
	v_or_b32_e32 v30, v32, v30
	s_delay_alu instid0(VALU_DEP_2)
	v_or_b32_e32 v31, v33, v31
	s_cbranch_scc1 .LBB3_364
.LBB3_365:                              ;   in Loop: Header=BB3_326 Depth=2
	s_wait_xcnt 0x0
	s_mov_b64 s[20:21], s[2:3]
	s_mov_b32 s29, 0
	s_cbranch_execz .LBB3_367
	s_branch .LBB3_368
.LBB3_366:                              ;   in Loop: Header=BB3_326 Depth=2
	s_wait_xcnt 0x0
	s_add_nc_u64 s[20:21], s[2:3], 8
                                        ; implicit-def: $vgpr30_vgpr31
	s_mov_b32 s29, 0
.LBB3_367:                              ;   in Loop: Header=BB3_326 Depth=2
	global_load_b64 v[30:31], v1, s[2:3]
	s_add_co_i32 s29, s28, -8
.LBB3_368:                              ;   in Loop: Header=BB3_326 Depth=2
	s_delay_alu instid0(SALU_CYCLE_1)
	s_cmp_gt_u32 s29, 7
	s_cbranch_scc1 .LBB3_373
; %bb.369:                              ;   in Loop: Header=BB3_326 Depth=2
	v_mov_b64_e32 v[32:33], 0
	s_cmp_eq_u32 s29, 0
	s_cbranch_scc1 .LBB3_372
; %bb.370:                              ;   in Loop: Header=BB3_326 Depth=2
	s_wait_xcnt 0x0
	s_mov_b64 s[2:3], 0
	s_mov_b64 s[22:23], s[20:21]
.LBB3_371:                              ;   Parent Loop BB3_5 Depth=1
                                        ;     Parent Loop BB3_326 Depth=2
                                        ; =>    This Inner Loop Header: Depth=3
	global_load_u8 v0, v1, s[22:23]
	s_add_co_i32 s29, s29, -1
	s_wait_xcnt 0x0
	s_add_nc_u64 s[22:23], s[22:23], 1
	s_cmp_lg_u32 s29, 0
	s_wait_loadcnt 0x0
	v_and_b32_e32 v0, 0xffff, v0
	s_delay_alu instid0(VALU_DEP_1) | instskip(SKIP_1) | instid1(VALU_DEP_1)
	v_lshlrev_b64_e32 v[34:35], s2, v[0:1]
	s_add_nc_u64 s[2:3], s[2:3], 8
	v_or_b32_e32 v32, v34, v32
	s_delay_alu instid0(VALU_DEP_2)
	v_or_b32_e32 v33, v35, v33
	s_cbranch_scc1 .LBB3_371
.LBB3_372:                              ;   in Loop: Header=BB3_326 Depth=2
	s_wait_xcnt 0x0
	s_cbranch_execz .LBB3_374
	s_branch .LBB3_375
.LBB3_373:                              ;   in Loop: Header=BB3_326 Depth=2
	s_wait_xcnt 0x0
.LBB3_374:                              ;   in Loop: Header=BB3_326 Depth=2
	global_load_b64 v[32:33], v1, s[20:21]
.LBB3_375:                              ;   in Loop: Header=BB3_326 Depth=2
	v_readfirstlane_b32 s2, v40
	v_mov_b64_e32 v[48:49], 0
	s_delay_alu instid0(VALU_DEP_2)
	v_cmp_eq_u32_e64 s2, s2, v40
	s_wait_xcnt 0x0
	s_and_saveexec_b32 s3, s2
	s_cbranch_execz .LBB3_381
; %bb.376:                              ;   in Loop: Header=BB3_326 Depth=2
	global_load_b64 v[36:37], v1, s[10:11] offset:24 scope:SCOPE_SYS
	s_wait_loadcnt 0x0
	global_inv scope:SCOPE_SYS
	s_clause 0x1
	global_load_b64 v[34:35], v1, s[10:11] offset:40
	global_load_b64 v[48:49], v1, s[10:11]
	s_mov_b32 s20, exec_lo
	s_wait_loadcnt 0x1
	v_and_b32_e32 v34, v34, v36
	v_and_b32_e32 v35, v35, v37
	s_delay_alu instid0(VALU_DEP_1) | instskip(SKIP_1) | instid1(VALU_DEP_1)
	v_mul_u64_e32 v[34:35], 24, v[34:35]
	s_wait_loadcnt 0x0
	v_add_nc_u64_e32 v[34:35], v[48:49], v[34:35]
	global_load_b64 v[34:35], v[34:35], off scope:SCOPE_SYS
	s_wait_xcnt 0x0
	s_wait_loadcnt 0x0
	global_atomic_cmpswap_b64 v[48:49], v1, v[34:37], s[10:11] offset:24 th:TH_ATOMIC_RETURN scope:SCOPE_SYS
	s_wait_loadcnt 0x0
	global_inv scope:SCOPE_SYS
	s_wait_xcnt 0x0
	v_cmpx_ne_u64_e64 v[48:49], v[36:37]
	s_cbranch_execz .LBB3_380
; %bb.377:                              ;   in Loop: Header=BB3_326 Depth=2
	s_mov_b32 s21, 0
.LBB3_378:                              ;   Parent Loop BB3_5 Depth=1
                                        ;     Parent Loop BB3_326 Depth=2
                                        ; =>    This Inner Loop Header: Depth=3
	s_sleep 1
	s_clause 0x1
	global_load_b64 v[34:35], v1, s[10:11] offset:40
	global_load_b64 v[50:51], v1, s[10:11]
	v_mov_b64_e32 v[36:37], v[48:49]
	s_wait_loadcnt 0x1
	s_delay_alu instid0(VALU_DEP_1) | instskip(SKIP_1) | instid1(VALU_DEP_1)
	v_and_b32_e32 v0, v34, v36
	s_wait_loadcnt 0x0
	v_mad_nc_u64_u32 v[48:49], v0, 24, v[50:51]
	s_delay_alu instid0(VALU_DEP_3) | instskip(NEXT) | instid1(VALU_DEP_1)
	v_and_b32_e32 v0, v35, v37
	v_mad_u32 v49, v0, 24, v49
	global_load_b64 v[34:35], v[48:49], off scope:SCOPE_SYS
	s_wait_xcnt 0x0
	s_wait_loadcnt 0x0
	global_atomic_cmpswap_b64 v[48:49], v1, v[34:37], s[10:11] offset:24 th:TH_ATOMIC_RETURN scope:SCOPE_SYS
	s_wait_loadcnt 0x0
	global_inv scope:SCOPE_SYS
	v_cmp_eq_u64_e32 vcc_lo, v[48:49], v[36:37]
	s_or_b32 s21, vcc_lo, s21
	s_wait_xcnt 0x0
	s_and_not1_b32 exec_lo, exec_lo, s21
	s_cbranch_execnz .LBB3_378
; %bb.379:                              ;   in Loop: Header=BB3_326 Depth=2
	s_or_b32 exec_lo, exec_lo, s21
.LBB3_380:                              ;   in Loop: Header=BB3_326 Depth=2
	s_delay_alu instid0(SALU_CYCLE_1)
	s_or_b32 exec_lo, exec_lo, s20
.LBB3_381:                              ;   in Loop: Header=BB3_326 Depth=2
	s_delay_alu instid0(SALU_CYCLE_1)
	s_or_b32 exec_lo, exec_lo, s3
	s_clause 0x1
	global_load_b64 v[50:51], v1, s[10:11] offset:40
	global_load_b128 v[34:37], v1, s[10:11]
	v_readfirstlane_b32 s20, v48
	v_readfirstlane_b32 s21, v49
	s_mov_b32 s3, exec_lo
	s_wait_loadcnt 0x1
	v_and_b32_e32 v50, s20, v50
	v_and_b32_e32 v51, s21, v51
	s_delay_alu instid0(VALU_DEP_1) | instskip(SKIP_1) | instid1(VALU_DEP_1)
	v_mul_u64_e32 v[48:49], 24, v[50:51]
	s_wait_loadcnt 0x0
	v_add_nc_u64_e32 v[48:49], v[34:35], v[48:49]
	s_wait_xcnt 0x0
	s_and_saveexec_b32 s22, s2
	s_cbranch_execz .LBB3_383
; %bb.382:                              ;   in Loop: Header=BB3_326 Depth=2
	v_mov_b32_e32 v0, s3
	global_store_b128 v[48:49], v[0:3], off offset:8
.LBB3_383:                              ;   in Loop: Header=BB3_326 Depth=2
	s_wait_xcnt 0x0
	s_or_b32 exec_lo, exec_lo, s22
	v_cmp_lt_u64_e64 vcc_lo, s[16:17], 57
	v_lshlrev_b64_e32 v[50:51], 12, v[50:51]
	v_and_b32_e32 v5, 0xffffff1f, v16
	s_lshl_b32 s3, s18, 2
	s_delay_alu instid0(SALU_CYCLE_1) | instskip(SKIP_1) | instid1(VALU_DEP_3)
	s_add_co_i32 s3, s3, 28
	v_cndmask_b32_e32 v0, 0, v6, vcc_lo
	v_add_nc_u64_e32 v[36:37], v[36:37], v[50:51]
	s_delay_alu instid0(VALU_DEP_2) | instskip(NEXT) | instid1(VALU_DEP_2)
	v_or_b32_e32 v0, v5, v0
	v_readfirstlane_b32 s22, v36
	s_delay_alu instid0(VALU_DEP_3) | instskip(NEXT) | instid1(VALU_DEP_3)
	v_readfirstlane_b32 s23, v37
	v_and_or_b32 v16, 0x1e0, s3, v0
	s_clause 0x3
	global_store_b128 v42, v[16:19], s[22:23]
	global_store_b128 v42, v[22:25], s[22:23] offset:16
	global_store_b128 v42, v[26:29], s[22:23] offset:32
	;; [unrolled: 1-line block ×3, first 2 shown]
	s_wait_xcnt 0x0
	s_and_saveexec_b32 s3, s2
	s_cbranch_execz .LBB3_391
; %bb.384:                              ;   in Loop: Header=BB3_326 Depth=2
	s_clause 0x1
	global_load_b64 v[26:27], v1, s[10:11] offset:32 scope:SCOPE_SYS
	global_load_b64 v[16:17], v1, s[10:11] offset:40
	s_mov_b32 s22, exec_lo
	v_dual_mov_b32 v24, s20 :: v_dual_mov_b32 v25, s21
	s_wait_loadcnt 0x0
	v_and_b32_e32 v17, s21, v17
	v_and_b32_e32 v16, s20, v16
	s_delay_alu instid0(VALU_DEP_1) | instskip(NEXT) | instid1(VALU_DEP_1)
	v_mul_u64_e32 v[16:17], 24, v[16:17]
	v_add_nc_u64_e32 v[22:23], v[34:35], v[16:17]
	global_store_b64 v[22:23], v[26:27], off
	global_wb scope:SCOPE_SYS
	s_wait_storecnt 0x0
	s_wait_xcnt 0x0
	global_atomic_cmpswap_b64 v[18:19], v1, v[24:27], s[10:11] offset:32 th:TH_ATOMIC_RETURN scope:SCOPE_SYS
	s_wait_loadcnt 0x0
	v_cmpx_ne_u64_e64 v[18:19], v[26:27]
	s_cbranch_execz .LBB3_387
; %bb.385:                              ;   in Loop: Header=BB3_326 Depth=2
	s_mov_b32 s23, 0
.LBB3_386:                              ;   Parent Loop BB3_5 Depth=1
                                        ;     Parent Loop BB3_326 Depth=2
                                        ; =>    This Inner Loop Header: Depth=3
	v_dual_mov_b32 v16, s20 :: v_dual_mov_b32 v17, s21
	s_sleep 1
	global_store_b64 v[22:23], v[18:19], off
	global_wb scope:SCOPE_SYS
	s_wait_storecnt 0x0
	s_wait_xcnt 0x0
	global_atomic_cmpswap_b64 v[16:17], v1, v[16:19], s[10:11] offset:32 th:TH_ATOMIC_RETURN scope:SCOPE_SYS
	s_wait_loadcnt 0x0
	v_cmp_eq_u64_e32 vcc_lo, v[16:17], v[18:19]
	v_mov_b64_e32 v[18:19], v[16:17]
	s_or_b32 s23, vcc_lo, s23
	s_delay_alu instid0(SALU_CYCLE_1)
	s_and_not1_b32 exec_lo, exec_lo, s23
	s_cbranch_execnz .LBB3_386
.LBB3_387:                              ;   in Loop: Header=BB3_326 Depth=2
	s_or_b32 exec_lo, exec_lo, s22
	global_load_b64 v[16:17], v1, s[10:11] offset:16
	s_mov_b32 s23, exec_lo
	s_mov_b32 s22, exec_lo
	v_mbcnt_lo_u32_b32 v0, s23, 0
	s_wait_xcnt 0x0
	s_delay_alu instid0(VALU_DEP_1)
	v_cmpx_eq_u32_e32 0, v0
	s_cbranch_execz .LBB3_389
; %bb.388:                              ;   in Loop: Header=BB3_326 Depth=2
	s_bcnt1_i32_b32 s23, s23
	s_delay_alu instid0(SALU_CYCLE_1)
	v_mov_b32_e32 v0, s23
	global_wb scope:SCOPE_SYS
	s_wait_loadcnt 0x0
	s_wait_storecnt 0x0
	global_atomic_add_u64 v[16:17], v[0:1], off offset:8 scope:SCOPE_SYS
.LBB3_389:                              ;   in Loop: Header=BB3_326 Depth=2
	s_wait_xcnt 0x0
	s_or_b32 exec_lo, exec_lo, s22
	s_wait_loadcnt 0x0
	global_load_b64 v[18:19], v[16:17], off offset:16
	s_wait_loadcnt 0x0
	v_cmp_eq_u64_e32 vcc_lo, 0, v[18:19]
	s_cbranch_vccnz .LBB3_391
; %bb.390:                              ;   in Loop: Header=BB3_326 Depth=2
	global_load_b32 v0, v[16:17], off offset:24
	s_wait_loadcnt 0x0
	v_readfirstlane_b32 s22, v0
	global_wb scope:SCOPE_SYS
	s_wait_storecnt 0x0
	s_wait_xcnt 0x0
	global_store_b64 v[18:19], v[0:1], off scope:SCOPE_SYS
	s_and_b32 m0, s22, 0xffffff
	s_sendmsg sendmsg(MSG_INTERRUPT)
.LBB3_391:                              ;   in Loop: Header=BB3_326 Depth=2
	s_wait_xcnt 0x0
	s_or_b32 exec_lo, exec_lo, s3
	v_mov_b32_e32 v43, v1
	s_delay_alu instid0(VALU_DEP_1)
	v_add_nc_u64_e32 v[16:17], v[36:37], v[42:43]
	s_branch .LBB3_395
.LBB3_392:                              ;   in Loop: Header=BB3_395 Depth=3
	s_wait_xcnt 0x0
	s_or_b32 exec_lo, exec_lo, s3
	s_delay_alu instid0(VALU_DEP_1)
	v_readfirstlane_b32 s3, v0
	s_cmp_eq_u32 s3, 0
	s_cbranch_scc1 .LBB3_394
; %bb.393:                              ;   in Loop: Header=BB3_395 Depth=3
	s_sleep 1
	s_cbranch_execnz .LBB3_395
	s_branch .LBB3_397
.LBB3_394:                              ;   in Loop: Header=BB3_326 Depth=2
	s_branch .LBB3_397
.LBB3_395:                              ;   Parent Loop BB3_5 Depth=1
                                        ;     Parent Loop BB3_326 Depth=2
                                        ; =>    This Inner Loop Header: Depth=3
	v_mov_b32_e32 v0, 1
	s_and_saveexec_b32 s3, s2
	s_cbranch_execz .LBB3_392
; %bb.396:                              ;   in Loop: Header=BB3_395 Depth=3
	global_load_b32 v0, v[48:49], off offset:20 scope:SCOPE_SYS
	s_wait_loadcnt 0x0
	global_inv scope:SCOPE_SYS
	v_and_b32_e32 v0, 1, v0
	s_branch .LBB3_392
.LBB3_397:                              ;   in Loop: Header=BB3_326 Depth=2
	global_load_b64 v[16:17], v[16:17], off
	s_wait_xcnt 0x0
	s_and_saveexec_b32 s22, s2
	s_cbranch_execz .LBB3_325
; %bb.398:                              ;   in Loop: Header=BB3_326 Depth=2
	s_clause 0x2
	global_load_b64 v[18:19], v1, s[10:11] offset:40
	global_load_b64 v[26:27], v1, s[10:11] offset:24 scope:SCOPE_SYS
	global_load_b64 v[22:23], v1, s[10:11]
	s_wait_loadcnt 0x2
	v_readfirstlane_b32 s28, v18
	v_readfirstlane_b32 s29, v19
	s_add_nc_u64 s[2:3], s[28:29], 1
	s_delay_alu instid0(SALU_CYCLE_1) | instskip(NEXT) | instid1(SALU_CYCLE_1)
	s_add_nc_u64 s[20:21], s[2:3], s[20:21]
	s_cmp_eq_u64 s[20:21], 0
	s_cselect_b32 s3, s3, s21
	s_cselect_b32 s2, s2, s20
	s_delay_alu instid0(SALU_CYCLE_1) | instskip(SKIP_1) | instid1(SALU_CYCLE_1)
	v_dual_mov_b32 v25, s3 :: v_dual_mov_b32 v24, s2
	s_and_b64 s[20:21], s[2:3], s[28:29]
	s_mul_u64 s[20:21], s[20:21], 24
	s_wait_loadcnt 0x0
	v_add_nc_u64_e32 v[18:19], s[20:21], v[22:23]
	global_store_b64 v[18:19], v[26:27], off
	global_wb scope:SCOPE_SYS
	s_wait_storecnt 0x0
	s_wait_xcnt 0x0
	global_atomic_cmpswap_b64 v[24:25], v1, v[24:27], s[10:11] offset:24 th:TH_ATOMIC_RETURN scope:SCOPE_SYS
	s_wait_loadcnt 0x0
	v_cmp_ne_u64_e32 vcc_lo, v[24:25], v[26:27]
	s_and_b32 exec_lo, exec_lo, vcc_lo
	s_cbranch_execz .LBB3_325
; %bb.399:                              ;   in Loop: Header=BB3_326 Depth=2
	s_mov_b32 s20, 0
.LBB3_400:                              ;   Parent Loop BB3_5 Depth=1
                                        ;     Parent Loop BB3_326 Depth=2
                                        ; =>    This Inner Loop Header: Depth=3
	v_dual_mov_b32 v22, s2 :: v_dual_mov_b32 v23, s3
	s_sleep 1
	global_store_b64 v[18:19], v[24:25], off
	global_wb scope:SCOPE_SYS
	s_wait_storecnt 0x0
	s_wait_xcnt 0x0
	global_atomic_cmpswap_b64 v[22:23], v1, v[22:25], s[10:11] offset:24 th:TH_ATOMIC_RETURN scope:SCOPE_SYS
	s_wait_loadcnt 0x0
	v_cmp_eq_u64_e32 vcc_lo, v[22:23], v[24:25]
	v_mov_b64_e32 v[24:25], v[22:23]
	s_or_b32 s20, vcc_lo, s20
	s_delay_alu instid0(SALU_CYCLE_1)
	s_and_not1_b32 exec_lo, exec_lo, s20
	s_cbranch_execnz .LBB3_400
	s_branch .LBB3_325
.LBB3_401:                              ;   in Loop: Header=BB3_5 Depth=1
.LBB3_402:                              ;   in Loop: Header=BB3_5 Depth=1
	s_and_b32 vcc_lo, exec_lo, s26
	s_cbranch_vccz .LBB3_509
.LBB3_403:                              ;   in Loop: Header=BB3_5 Depth=1
	s_wait_loadcnt 0x0
	v_dual_mov_b32 v19, v17 :: v_dual_bitop2_b32 v6, 2, v16 bitop3:0x40
	v_and_b32_e32 v18, -3, v16
	s_mov_b64 s[16:17], 56
	s_get_pc_i64 s[14:15]
	s_add_nc_u64 s[14:15], s[14:15], .str.4@rel64+4
	s_branch .LBB3_405
.LBB3_404:                              ;   in Loop: Header=BB3_405 Depth=2
	s_or_b32 exec_lo, exec_lo, s22
	s_sub_nc_u64 s[16:17], s[16:17], s[18:19]
	s_add_nc_u64 s[14:15], s[14:15], s[18:19]
	s_cmp_lg_u64 s[16:17], 0
	s_cbranch_scc0 .LBB3_480
.LBB3_405:                              ;   Parent Loop BB3_5 Depth=1
                                        ; =>  This Loop Header: Depth=2
                                        ;       Child Loop BB3_408 Depth 3
                                        ;       Child Loop BB3_415 Depth 3
	;; [unrolled: 1-line block ×11, first 2 shown]
	v_min_u64 v[20:21], s[16:17], 56
	v_cmp_gt_u64_e64 s2, s[16:17], 7
	s_and_b32 vcc_lo, exec_lo, s2
	v_readfirstlane_b32 s18, v20
	v_readfirstlane_b32 s19, v21
	s_cbranch_vccnz .LBB3_410
; %bb.406:                              ;   in Loop: Header=BB3_405 Depth=2
	v_mov_b64_e32 v[20:21], 0
	s_cmp_eq_u64 s[16:17], 0
	s_cbranch_scc1 .LBB3_409
; %bb.407:                              ;   in Loop: Header=BB3_405 Depth=2
	s_mov_b64 s[2:3], 0
	s_mov_b64 s[20:21], 0
.LBB3_408:                              ;   Parent Loop BB3_5 Depth=1
                                        ;     Parent Loop BB3_405 Depth=2
                                        ; =>    This Inner Loop Header: Depth=3
	s_wait_xcnt 0x0
	s_add_nc_u64 s[22:23], s[14:15], s[20:21]
	s_add_nc_u64 s[20:21], s[20:21], 1
	global_load_u8 v0, v1, s[22:23]
	s_cmp_lg_u32 s18, s20
	s_wait_loadcnt 0x0
	v_and_b32_e32 v0, 0xffff, v0
	s_delay_alu instid0(VALU_DEP_1) | instskip(SKIP_1) | instid1(VALU_DEP_1)
	v_lshlrev_b64_e32 v[22:23], s2, v[0:1]
	s_add_nc_u64 s[2:3], s[2:3], 8
	v_or_b32_e32 v20, v22, v20
	s_delay_alu instid0(VALU_DEP_2)
	v_or_b32_e32 v21, v23, v21
	s_cbranch_scc1 .LBB3_408
.LBB3_409:                              ;   in Loop: Header=BB3_405 Depth=2
	s_mov_b64 s[2:3], s[14:15]
	s_mov_b32 s28, 0
	s_cbranch_execz .LBB3_411
	s_branch .LBB3_412
.LBB3_410:                              ;   in Loop: Header=BB3_405 Depth=2
	s_add_nc_u64 s[2:3], s[14:15], 8
	s_mov_b32 s28, 0
.LBB3_411:                              ;   in Loop: Header=BB3_405 Depth=2
	global_load_b64 v[20:21], v1, s[14:15]
	s_add_co_i32 s28, s18, -8
.LBB3_412:                              ;   in Loop: Header=BB3_405 Depth=2
	s_delay_alu instid0(SALU_CYCLE_1)
	s_cmp_gt_u32 s28, 7
	s_cbranch_scc1 .LBB3_417
; %bb.413:                              ;   in Loop: Header=BB3_405 Depth=2
	v_mov_b64_e32 v[22:23], 0
	s_cmp_eq_u32 s28, 0
	s_cbranch_scc1 .LBB3_416
; %bb.414:                              ;   in Loop: Header=BB3_405 Depth=2
	s_mov_b64 s[20:21], 0
	s_wait_xcnt 0x0
	s_mov_b64 s[22:23], 0
.LBB3_415:                              ;   Parent Loop BB3_5 Depth=1
                                        ;     Parent Loop BB3_405 Depth=2
                                        ; =>    This Inner Loop Header: Depth=3
	s_wait_xcnt 0x0
	s_add_nc_u64 s[30:31], s[2:3], s[22:23]
	s_add_nc_u64 s[22:23], s[22:23], 1
	global_load_u8 v0, v1, s[30:31]
	s_cmp_lg_u32 s28, s22
	s_wait_loadcnt 0x0
	v_and_b32_e32 v0, 0xffff, v0
	s_delay_alu instid0(VALU_DEP_1) | instskip(SKIP_1) | instid1(VALU_DEP_1)
	v_lshlrev_b64_e32 v[24:25], s20, v[0:1]
	s_add_nc_u64 s[20:21], s[20:21], 8
	v_or_b32_e32 v22, v24, v22
	s_delay_alu instid0(VALU_DEP_2)
	v_or_b32_e32 v23, v25, v23
	s_cbranch_scc1 .LBB3_415
.LBB3_416:                              ;   in Loop: Header=BB3_405 Depth=2
	s_wait_xcnt 0x0
	s_mov_b64 s[20:21], s[2:3]
	s_mov_b32 s29, 0
	s_cbranch_execz .LBB3_418
	s_branch .LBB3_419
.LBB3_417:                              ;   in Loop: Header=BB3_405 Depth=2
	s_add_nc_u64 s[20:21], s[2:3], 8
	s_wait_xcnt 0x0
                                        ; implicit-def: $vgpr22_vgpr23
	s_mov_b32 s29, 0
.LBB3_418:                              ;   in Loop: Header=BB3_405 Depth=2
	global_load_b64 v[22:23], v1, s[2:3]
	s_add_co_i32 s29, s28, -8
.LBB3_419:                              ;   in Loop: Header=BB3_405 Depth=2
	s_delay_alu instid0(SALU_CYCLE_1)
	s_cmp_gt_u32 s29, 7
	s_cbranch_scc1 .LBB3_424
; %bb.420:                              ;   in Loop: Header=BB3_405 Depth=2
	v_mov_b64_e32 v[24:25], 0
	s_cmp_eq_u32 s29, 0
	s_cbranch_scc1 .LBB3_423
; %bb.421:                              ;   in Loop: Header=BB3_405 Depth=2
	s_wait_xcnt 0x0
	s_mov_b64 s[2:3], 0
	s_mov_b64 s[22:23], 0
.LBB3_422:                              ;   Parent Loop BB3_5 Depth=1
                                        ;     Parent Loop BB3_405 Depth=2
                                        ; =>    This Inner Loop Header: Depth=3
	s_wait_xcnt 0x0
	s_add_nc_u64 s[30:31], s[20:21], s[22:23]
	s_add_nc_u64 s[22:23], s[22:23], 1
	global_load_u8 v0, v1, s[30:31]
	s_cmp_lg_u32 s29, s22
	s_wait_loadcnt 0x0
	v_and_b32_e32 v0, 0xffff, v0
	s_delay_alu instid0(VALU_DEP_1) | instskip(SKIP_1) | instid1(VALU_DEP_1)
	v_lshlrev_b64_e32 v[26:27], s2, v[0:1]
	s_add_nc_u64 s[2:3], s[2:3], 8
	v_or_b32_e32 v24, v26, v24
	s_delay_alu instid0(VALU_DEP_2)
	v_or_b32_e32 v25, v27, v25
	s_cbranch_scc1 .LBB3_422
.LBB3_423:                              ;   in Loop: Header=BB3_405 Depth=2
	s_wait_xcnt 0x0
	s_mov_b64 s[2:3], s[20:21]
	s_mov_b32 s28, 0
	s_cbranch_execz .LBB3_425
	s_branch .LBB3_426
.LBB3_424:                              ;   in Loop: Header=BB3_405 Depth=2
	s_wait_xcnt 0x0
	s_add_nc_u64 s[2:3], s[20:21], 8
	s_mov_b32 s28, 0
.LBB3_425:                              ;   in Loop: Header=BB3_405 Depth=2
	global_load_b64 v[24:25], v1, s[20:21]
	s_add_co_i32 s28, s29, -8
.LBB3_426:                              ;   in Loop: Header=BB3_405 Depth=2
	s_delay_alu instid0(SALU_CYCLE_1)
	s_cmp_gt_u32 s28, 7
	s_cbranch_scc1 .LBB3_431
; %bb.427:                              ;   in Loop: Header=BB3_405 Depth=2
	v_mov_b64_e32 v[26:27], 0
	s_cmp_eq_u32 s28, 0
	s_cbranch_scc1 .LBB3_430
; %bb.428:                              ;   in Loop: Header=BB3_405 Depth=2
	s_wait_xcnt 0x0
	s_mov_b64 s[20:21], 0
	s_mov_b64 s[22:23], 0
.LBB3_429:                              ;   Parent Loop BB3_5 Depth=1
                                        ;     Parent Loop BB3_405 Depth=2
                                        ; =>    This Inner Loop Header: Depth=3
	s_wait_xcnt 0x0
	s_add_nc_u64 s[30:31], s[2:3], s[22:23]
	s_add_nc_u64 s[22:23], s[22:23], 1
	global_load_u8 v0, v1, s[30:31]
	s_cmp_lg_u32 s28, s22
	s_wait_loadcnt 0x0
	v_and_b32_e32 v0, 0xffff, v0
	s_delay_alu instid0(VALU_DEP_1) | instskip(SKIP_1) | instid1(VALU_DEP_1)
	v_lshlrev_b64_e32 v[28:29], s20, v[0:1]
	s_add_nc_u64 s[20:21], s[20:21], 8
	v_or_b32_e32 v26, v28, v26
	s_delay_alu instid0(VALU_DEP_2)
	v_or_b32_e32 v27, v29, v27
	s_cbranch_scc1 .LBB3_429
.LBB3_430:                              ;   in Loop: Header=BB3_405 Depth=2
	s_wait_xcnt 0x0
	s_mov_b64 s[20:21], s[2:3]
	s_mov_b32 s29, 0
	s_cbranch_execz .LBB3_432
	s_branch .LBB3_433
.LBB3_431:                              ;   in Loop: Header=BB3_405 Depth=2
	s_wait_xcnt 0x0
	s_add_nc_u64 s[20:21], s[2:3], 8
                                        ; implicit-def: $vgpr26_vgpr27
	s_mov_b32 s29, 0
.LBB3_432:                              ;   in Loop: Header=BB3_405 Depth=2
	global_load_b64 v[26:27], v1, s[2:3]
	s_add_co_i32 s29, s28, -8
.LBB3_433:                              ;   in Loop: Header=BB3_405 Depth=2
	s_delay_alu instid0(SALU_CYCLE_1)
	s_cmp_gt_u32 s29, 7
	s_cbranch_scc1 .LBB3_438
; %bb.434:                              ;   in Loop: Header=BB3_405 Depth=2
	v_mov_b64_e32 v[28:29], 0
	s_cmp_eq_u32 s29, 0
	s_cbranch_scc1 .LBB3_437
; %bb.435:                              ;   in Loop: Header=BB3_405 Depth=2
	s_wait_xcnt 0x0
	s_mov_b64 s[2:3], 0
	s_mov_b64 s[22:23], 0
.LBB3_436:                              ;   Parent Loop BB3_5 Depth=1
                                        ;     Parent Loop BB3_405 Depth=2
                                        ; =>    This Inner Loop Header: Depth=3
	s_wait_xcnt 0x0
	s_add_nc_u64 s[30:31], s[20:21], s[22:23]
	s_add_nc_u64 s[22:23], s[22:23], 1
	global_load_u8 v0, v1, s[30:31]
	s_cmp_lg_u32 s29, s22
	s_wait_loadcnt 0x0
	v_and_b32_e32 v0, 0xffff, v0
	s_delay_alu instid0(VALU_DEP_1) | instskip(SKIP_1) | instid1(VALU_DEP_1)
	v_lshlrev_b64_e32 v[30:31], s2, v[0:1]
	s_add_nc_u64 s[2:3], s[2:3], 8
	v_or_b32_e32 v28, v30, v28
	s_delay_alu instid0(VALU_DEP_2)
	v_or_b32_e32 v29, v31, v29
	s_cbranch_scc1 .LBB3_436
.LBB3_437:                              ;   in Loop: Header=BB3_405 Depth=2
	s_wait_xcnt 0x0
	s_mov_b64 s[2:3], s[20:21]
	s_mov_b32 s28, 0
	s_cbranch_execz .LBB3_439
	s_branch .LBB3_440
.LBB3_438:                              ;   in Loop: Header=BB3_405 Depth=2
	s_wait_xcnt 0x0
	s_add_nc_u64 s[2:3], s[20:21], 8
	s_mov_b32 s28, 0
.LBB3_439:                              ;   in Loop: Header=BB3_405 Depth=2
	global_load_b64 v[28:29], v1, s[20:21]
	s_add_co_i32 s28, s29, -8
.LBB3_440:                              ;   in Loop: Header=BB3_405 Depth=2
	s_delay_alu instid0(SALU_CYCLE_1)
	s_cmp_gt_u32 s28, 7
	s_cbranch_scc1 .LBB3_445
; %bb.441:                              ;   in Loop: Header=BB3_405 Depth=2
	v_mov_b64_e32 v[30:31], 0
	s_cmp_eq_u32 s28, 0
	s_cbranch_scc1 .LBB3_444
; %bb.442:                              ;   in Loop: Header=BB3_405 Depth=2
	s_wait_xcnt 0x0
	s_mov_b64 s[20:21], 0
	s_mov_b64 s[22:23], 0
.LBB3_443:                              ;   Parent Loop BB3_5 Depth=1
                                        ;     Parent Loop BB3_405 Depth=2
                                        ; =>    This Inner Loop Header: Depth=3
	s_wait_xcnt 0x0
	s_add_nc_u64 s[30:31], s[2:3], s[22:23]
	s_add_nc_u64 s[22:23], s[22:23], 1
	global_load_u8 v0, v1, s[30:31]
	s_cmp_lg_u32 s28, s22
	s_wait_loadcnt 0x0
	v_and_b32_e32 v0, 0xffff, v0
	s_delay_alu instid0(VALU_DEP_1) | instskip(SKIP_1) | instid1(VALU_DEP_1)
	v_lshlrev_b64_e32 v[32:33], s20, v[0:1]
	s_add_nc_u64 s[20:21], s[20:21], 8
	v_or_b32_e32 v30, v32, v30
	s_delay_alu instid0(VALU_DEP_2)
	v_or_b32_e32 v31, v33, v31
	s_cbranch_scc1 .LBB3_443
.LBB3_444:                              ;   in Loop: Header=BB3_405 Depth=2
	s_wait_xcnt 0x0
	s_mov_b64 s[20:21], s[2:3]
	s_mov_b32 s29, 0
	s_cbranch_execz .LBB3_446
	s_branch .LBB3_447
.LBB3_445:                              ;   in Loop: Header=BB3_405 Depth=2
	s_wait_xcnt 0x0
	s_add_nc_u64 s[20:21], s[2:3], 8
                                        ; implicit-def: $vgpr30_vgpr31
	s_mov_b32 s29, 0
.LBB3_446:                              ;   in Loop: Header=BB3_405 Depth=2
	global_load_b64 v[30:31], v1, s[2:3]
	s_add_co_i32 s29, s28, -8
.LBB3_447:                              ;   in Loop: Header=BB3_405 Depth=2
	s_delay_alu instid0(SALU_CYCLE_1)
	s_cmp_gt_u32 s29, 7
	s_cbranch_scc1 .LBB3_452
; %bb.448:                              ;   in Loop: Header=BB3_405 Depth=2
	v_mov_b64_e32 v[32:33], 0
	s_cmp_eq_u32 s29, 0
	s_cbranch_scc1 .LBB3_451
; %bb.449:                              ;   in Loop: Header=BB3_405 Depth=2
	s_wait_xcnt 0x0
	s_mov_b64 s[2:3], 0
	s_mov_b64 s[22:23], s[20:21]
.LBB3_450:                              ;   Parent Loop BB3_5 Depth=1
                                        ;     Parent Loop BB3_405 Depth=2
                                        ; =>    This Inner Loop Header: Depth=3
	global_load_u8 v0, v1, s[22:23]
	s_add_co_i32 s29, s29, -1
	s_wait_xcnt 0x0
	s_add_nc_u64 s[22:23], s[22:23], 1
	s_cmp_lg_u32 s29, 0
	s_wait_loadcnt 0x0
	v_and_b32_e32 v0, 0xffff, v0
	s_delay_alu instid0(VALU_DEP_1) | instskip(SKIP_1) | instid1(VALU_DEP_1)
	v_lshlrev_b64_e32 v[34:35], s2, v[0:1]
	s_add_nc_u64 s[2:3], s[2:3], 8
	v_or_b32_e32 v32, v34, v32
	s_delay_alu instid0(VALU_DEP_2)
	v_or_b32_e32 v33, v35, v33
	s_cbranch_scc1 .LBB3_450
.LBB3_451:                              ;   in Loop: Header=BB3_405 Depth=2
	s_wait_xcnt 0x0
	s_cbranch_execz .LBB3_453
	s_branch .LBB3_454
.LBB3_452:                              ;   in Loop: Header=BB3_405 Depth=2
	s_wait_xcnt 0x0
.LBB3_453:                              ;   in Loop: Header=BB3_405 Depth=2
	global_load_b64 v[32:33], v1, s[20:21]
.LBB3_454:                              ;   in Loop: Header=BB3_405 Depth=2
	v_readfirstlane_b32 s2, v40
	v_mov_b64_e32 v[48:49], 0
	s_delay_alu instid0(VALU_DEP_2)
	v_cmp_eq_u32_e64 s2, s2, v40
	s_wait_xcnt 0x0
	s_and_saveexec_b32 s3, s2
	s_cbranch_execz .LBB3_460
; %bb.455:                              ;   in Loop: Header=BB3_405 Depth=2
	global_load_b64 v[36:37], v1, s[10:11] offset:24 scope:SCOPE_SYS
	s_wait_loadcnt 0x0
	global_inv scope:SCOPE_SYS
	s_clause 0x1
	global_load_b64 v[34:35], v1, s[10:11] offset:40
	global_load_b64 v[48:49], v1, s[10:11]
	s_mov_b32 s20, exec_lo
	s_wait_loadcnt 0x1
	v_and_b32_e32 v34, v34, v36
	v_and_b32_e32 v35, v35, v37
	s_delay_alu instid0(VALU_DEP_1) | instskip(SKIP_1) | instid1(VALU_DEP_1)
	v_mul_u64_e32 v[34:35], 24, v[34:35]
	s_wait_loadcnt 0x0
	v_add_nc_u64_e32 v[34:35], v[48:49], v[34:35]
	global_load_b64 v[34:35], v[34:35], off scope:SCOPE_SYS
	s_wait_xcnt 0x0
	s_wait_loadcnt 0x0
	global_atomic_cmpswap_b64 v[48:49], v1, v[34:37], s[10:11] offset:24 th:TH_ATOMIC_RETURN scope:SCOPE_SYS
	s_wait_loadcnt 0x0
	global_inv scope:SCOPE_SYS
	s_wait_xcnt 0x0
	v_cmpx_ne_u64_e64 v[48:49], v[36:37]
	s_cbranch_execz .LBB3_459
; %bb.456:                              ;   in Loop: Header=BB3_405 Depth=2
	s_mov_b32 s21, 0
.LBB3_457:                              ;   Parent Loop BB3_5 Depth=1
                                        ;     Parent Loop BB3_405 Depth=2
                                        ; =>    This Inner Loop Header: Depth=3
	s_sleep 1
	s_clause 0x1
	global_load_b64 v[34:35], v1, s[10:11] offset:40
	global_load_b64 v[50:51], v1, s[10:11]
	v_mov_b64_e32 v[36:37], v[48:49]
	s_wait_loadcnt 0x1
	s_delay_alu instid0(VALU_DEP_1) | instskip(SKIP_1) | instid1(VALU_DEP_1)
	v_and_b32_e32 v0, v34, v36
	s_wait_loadcnt 0x0
	v_mad_nc_u64_u32 v[48:49], v0, 24, v[50:51]
	s_delay_alu instid0(VALU_DEP_3) | instskip(NEXT) | instid1(VALU_DEP_1)
	v_and_b32_e32 v0, v35, v37
	v_mad_u32 v49, v0, 24, v49
	global_load_b64 v[34:35], v[48:49], off scope:SCOPE_SYS
	s_wait_xcnt 0x0
	s_wait_loadcnt 0x0
	global_atomic_cmpswap_b64 v[48:49], v1, v[34:37], s[10:11] offset:24 th:TH_ATOMIC_RETURN scope:SCOPE_SYS
	s_wait_loadcnt 0x0
	global_inv scope:SCOPE_SYS
	v_cmp_eq_u64_e32 vcc_lo, v[48:49], v[36:37]
	s_or_b32 s21, vcc_lo, s21
	s_wait_xcnt 0x0
	s_and_not1_b32 exec_lo, exec_lo, s21
	s_cbranch_execnz .LBB3_457
; %bb.458:                              ;   in Loop: Header=BB3_405 Depth=2
	s_or_b32 exec_lo, exec_lo, s21
.LBB3_459:                              ;   in Loop: Header=BB3_405 Depth=2
	s_delay_alu instid0(SALU_CYCLE_1)
	s_or_b32 exec_lo, exec_lo, s20
.LBB3_460:                              ;   in Loop: Header=BB3_405 Depth=2
	s_delay_alu instid0(SALU_CYCLE_1)
	s_or_b32 exec_lo, exec_lo, s3
	s_clause 0x1
	global_load_b64 v[50:51], v1, s[10:11] offset:40
	global_load_b128 v[34:37], v1, s[10:11]
	v_readfirstlane_b32 s20, v48
	v_readfirstlane_b32 s21, v49
	s_mov_b32 s3, exec_lo
	s_wait_loadcnt 0x1
	v_and_b32_e32 v50, s20, v50
	v_and_b32_e32 v51, s21, v51
	s_delay_alu instid0(VALU_DEP_1) | instskip(SKIP_1) | instid1(VALU_DEP_1)
	v_mul_u64_e32 v[48:49], 24, v[50:51]
	s_wait_loadcnt 0x0
	v_add_nc_u64_e32 v[48:49], v[34:35], v[48:49]
	s_wait_xcnt 0x0
	s_and_saveexec_b32 s22, s2
	s_cbranch_execz .LBB3_462
; %bb.461:                              ;   in Loop: Header=BB3_405 Depth=2
	v_mov_b32_e32 v0, s3
	global_store_b128 v[48:49], v[0:3], off offset:8
.LBB3_462:                              ;   in Loop: Header=BB3_405 Depth=2
	s_wait_xcnt 0x0
	s_or_b32 exec_lo, exec_lo, s22
	v_cmp_lt_u64_e64 vcc_lo, s[16:17], 57
	v_lshlrev_b64_e32 v[50:51], 12, v[50:51]
	v_and_b32_e32 v5, 0xffffff1f, v18
	s_lshl_b32 s3, s18, 2
	s_delay_alu instid0(SALU_CYCLE_1) | instskip(SKIP_1) | instid1(VALU_DEP_3)
	s_add_co_i32 s3, s3, 28
	v_cndmask_b32_e32 v0, 0, v6, vcc_lo
	v_add_nc_u64_e32 v[36:37], v[36:37], v[50:51]
	s_delay_alu instid0(VALU_DEP_2) | instskip(NEXT) | instid1(VALU_DEP_2)
	v_or_b32_e32 v0, v5, v0
	v_readfirstlane_b32 s22, v36
	s_delay_alu instid0(VALU_DEP_3) | instskip(NEXT) | instid1(VALU_DEP_3)
	v_readfirstlane_b32 s23, v37
	v_and_or_b32 v18, 0x1e0, s3, v0
	s_clause 0x3
	global_store_b128 v42, v[18:21], s[22:23]
	global_store_b128 v42, v[22:25], s[22:23] offset:16
	global_store_b128 v42, v[26:29], s[22:23] offset:32
	;; [unrolled: 1-line block ×3, first 2 shown]
	s_wait_xcnt 0x0
	s_and_saveexec_b32 s3, s2
	s_cbranch_execz .LBB3_470
; %bb.463:                              ;   in Loop: Header=BB3_405 Depth=2
	s_clause 0x1
	global_load_b64 v[26:27], v1, s[10:11] offset:32 scope:SCOPE_SYS
	global_load_b64 v[18:19], v1, s[10:11] offset:40
	s_mov_b32 s22, exec_lo
	v_dual_mov_b32 v24, s20 :: v_dual_mov_b32 v25, s21
	s_wait_loadcnt 0x0
	v_and_b32_e32 v19, s21, v19
	v_and_b32_e32 v18, s20, v18
	s_delay_alu instid0(VALU_DEP_1) | instskip(NEXT) | instid1(VALU_DEP_1)
	v_mul_u64_e32 v[18:19], 24, v[18:19]
	v_add_nc_u64_e32 v[22:23], v[34:35], v[18:19]
	global_store_b64 v[22:23], v[26:27], off
	global_wb scope:SCOPE_SYS
	s_wait_storecnt 0x0
	s_wait_xcnt 0x0
	global_atomic_cmpswap_b64 v[20:21], v1, v[24:27], s[10:11] offset:32 th:TH_ATOMIC_RETURN scope:SCOPE_SYS
	s_wait_loadcnt 0x0
	v_cmpx_ne_u64_e64 v[20:21], v[26:27]
	s_cbranch_execz .LBB3_466
; %bb.464:                              ;   in Loop: Header=BB3_405 Depth=2
	s_mov_b32 s23, 0
.LBB3_465:                              ;   Parent Loop BB3_5 Depth=1
                                        ;     Parent Loop BB3_405 Depth=2
                                        ; =>    This Inner Loop Header: Depth=3
	v_dual_mov_b32 v18, s20 :: v_dual_mov_b32 v19, s21
	s_sleep 1
	global_store_b64 v[22:23], v[20:21], off
	global_wb scope:SCOPE_SYS
	s_wait_storecnt 0x0
	s_wait_xcnt 0x0
	global_atomic_cmpswap_b64 v[18:19], v1, v[18:21], s[10:11] offset:32 th:TH_ATOMIC_RETURN scope:SCOPE_SYS
	s_wait_loadcnt 0x0
	v_cmp_eq_u64_e32 vcc_lo, v[18:19], v[20:21]
	v_mov_b64_e32 v[20:21], v[18:19]
	s_or_b32 s23, vcc_lo, s23
	s_delay_alu instid0(SALU_CYCLE_1)
	s_and_not1_b32 exec_lo, exec_lo, s23
	s_cbranch_execnz .LBB3_465
.LBB3_466:                              ;   in Loop: Header=BB3_405 Depth=2
	s_or_b32 exec_lo, exec_lo, s22
	global_load_b64 v[18:19], v1, s[10:11] offset:16
	s_mov_b32 s23, exec_lo
	s_mov_b32 s22, exec_lo
	v_mbcnt_lo_u32_b32 v0, s23, 0
	s_wait_xcnt 0x0
	s_delay_alu instid0(VALU_DEP_1)
	v_cmpx_eq_u32_e32 0, v0
	s_cbranch_execz .LBB3_468
; %bb.467:                              ;   in Loop: Header=BB3_405 Depth=2
	s_bcnt1_i32_b32 s23, s23
	s_delay_alu instid0(SALU_CYCLE_1)
	v_mov_b32_e32 v0, s23
	global_wb scope:SCOPE_SYS
	s_wait_loadcnt 0x0
	s_wait_storecnt 0x0
	global_atomic_add_u64 v[18:19], v[0:1], off offset:8 scope:SCOPE_SYS
.LBB3_468:                              ;   in Loop: Header=BB3_405 Depth=2
	s_wait_xcnt 0x0
	s_or_b32 exec_lo, exec_lo, s22
	s_wait_loadcnt 0x0
	global_load_b64 v[20:21], v[18:19], off offset:16
	s_wait_loadcnt 0x0
	v_cmp_eq_u64_e32 vcc_lo, 0, v[20:21]
	s_cbranch_vccnz .LBB3_470
; %bb.469:                              ;   in Loop: Header=BB3_405 Depth=2
	global_load_b32 v0, v[18:19], off offset:24
	s_wait_loadcnt 0x0
	v_readfirstlane_b32 s22, v0
	global_wb scope:SCOPE_SYS
	s_wait_storecnt 0x0
	s_wait_xcnt 0x0
	global_store_b64 v[20:21], v[0:1], off scope:SCOPE_SYS
	s_and_b32 m0, s22, 0xffffff
	s_sendmsg sendmsg(MSG_INTERRUPT)
.LBB3_470:                              ;   in Loop: Header=BB3_405 Depth=2
	s_wait_xcnt 0x0
	s_or_b32 exec_lo, exec_lo, s3
	v_mov_b32_e32 v43, v1
	s_delay_alu instid0(VALU_DEP_1)
	v_add_nc_u64_e32 v[18:19], v[36:37], v[42:43]
	s_branch .LBB3_474
.LBB3_471:                              ;   in Loop: Header=BB3_474 Depth=3
	s_wait_xcnt 0x0
	s_or_b32 exec_lo, exec_lo, s3
	s_delay_alu instid0(VALU_DEP_1)
	v_readfirstlane_b32 s3, v0
	s_cmp_eq_u32 s3, 0
	s_cbranch_scc1 .LBB3_473
; %bb.472:                              ;   in Loop: Header=BB3_474 Depth=3
	s_sleep 1
	s_cbranch_execnz .LBB3_474
	s_branch .LBB3_476
.LBB3_473:                              ;   in Loop: Header=BB3_405 Depth=2
	s_branch .LBB3_476
.LBB3_474:                              ;   Parent Loop BB3_5 Depth=1
                                        ;     Parent Loop BB3_405 Depth=2
                                        ; =>    This Inner Loop Header: Depth=3
	v_mov_b32_e32 v0, 1
	s_and_saveexec_b32 s3, s2
	s_cbranch_execz .LBB3_471
; %bb.475:                              ;   in Loop: Header=BB3_474 Depth=3
	global_load_b32 v0, v[48:49], off offset:20 scope:SCOPE_SYS
	s_wait_loadcnt 0x0
	global_inv scope:SCOPE_SYS
	v_and_b32_e32 v0, 1, v0
	s_branch .LBB3_471
.LBB3_476:                              ;   in Loop: Header=BB3_405 Depth=2
	global_load_b64 v[18:19], v[18:19], off
	s_wait_xcnt 0x0
	s_and_saveexec_b32 s22, s2
	s_cbranch_execz .LBB3_404
; %bb.477:                              ;   in Loop: Header=BB3_405 Depth=2
	s_clause 0x2
	global_load_b64 v[20:21], v1, s[10:11] offset:40
	global_load_b64 v[28:29], v1, s[10:11] offset:24 scope:SCOPE_SYS
	global_load_b64 v[22:23], v1, s[10:11]
	s_wait_loadcnt 0x2
	v_readfirstlane_b32 s28, v20
	v_readfirstlane_b32 s29, v21
	s_add_nc_u64 s[2:3], s[28:29], 1
	s_delay_alu instid0(SALU_CYCLE_1) | instskip(NEXT) | instid1(SALU_CYCLE_1)
	s_add_nc_u64 s[20:21], s[2:3], s[20:21]
	s_cmp_eq_u64 s[20:21], 0
	s_cselect_b32 s3, s3, s21
	s_cselect_b32 s2, s2, s20
	s_delay_alu instid0(SALU_CYCLE_1) | instskip(SKIP_1) | instid1(SALU_CYCLE_1)
	v_dual_mov_b32 v27, s3 :: v_dual_mov_b32 v26, s2
	s_and_b64 s[20:21], s[2:3], s[28:29]
	s_mul_u64 s[20:21], s[20:21], 24
	s_wait_loadcnt 0x0
	v_add_nc_u64_e32 v[24:25], s[20:21], v[22:23]
	global_store_b64 v[24:25], v[28:29], off
	global_wb scope:SCOPE_SYS
	s_wait_storecnt 0x0
	s_wait_xcnt 0x0
	global_atomic_cmpswap_b64 v[22:23], v1, v[26:29], s[10:11] offset:24 th:TH_ATOMIC_RETURN scope:SCOPE_SYS
	s_wait_loadcnt 0x0
	v_cmp_ne_u64_e32 vcc_lo, v[22:23], v[28:29]
	s_and_b32 exec_lo, exec_lo, vcc_lo
	s_cbranch_execz .LBB3_404
; %bb.478:                              ;   in Loop: Header=BB3_405 Depth=2
	s_mov_b32 s20, 0
.LBB3_479:                              ;   Parent Loop BB3_5 Depth=1
                                        ;     Parent Loop BB3_405 Depth=2
                                        ; =>    This Inner Loop Header: Depth=3
	v_dual_mov_b32 v20, s2 :: v_dual_mov_b32 v21, s3
	s_sleep 1
	global_store_b64 v[24:25], v[22:23], off
	global_wb scope:SCOPE_SYS
	s_wait_storecnt 0x0
	s_wait_xcnt 0x0
	global_atomic_cmpswap_b64 v[20:21], v1, v[20:23], s[10:11] offset:24 th:TH_ATOMIC_RETURN scope:SCOPE_SYS
	s_wait_loadcnt 0x0
	v_cmp_eq_u64_e32 vcc_lo, v[20:21], v[22:23]
	v_mov_b64_e32 v[22:23], v[20:21]
	s_or_b32 s20, vcc_lo, s20
	s_delay_alu instid0(SALU_CYCLE_1)
	s_and_not1_b32 exec_lo, exec_lo, s20
	s_cbranch_execnz .LBB3_479
	s_branch .LBB3_404
.LBB3_480:                              ;   in Loop: Header=BB3_5 Depth=1
	s_branch .LBB3_537
.LBB3_481:                              ;   in Loop: Header=BB3_5 Depth=1
                                        ; implicit-def: $vgpr16_vgpr17
	s_cbranch_execz .LBB3_402
; %bb.482:                              ;   in Loop: Header=BB3_5 Depth=1
	v_readfirstlane_b32 s2, v40
	v_mov_b64_e32 v[6:7], 0
	s_delay_alu instid0(VALU_DEP_2)
	v_cmp_eq_u32_e64 s2, s2, v40
	s_and_saveexec_b32 s3, s2
	s_cbranch_execz .LBB3_488
; %bb.483:                              ;   in Loop: Header=BB3_5 Depth=1
	global_load_b64 v[18:19], v1, s[10:11] offset:24 scope:SCOPE_SYS
	s_wait_loadcnt 0x0
	global_inv scope:SCOPE_SYS
	s_clause 0x1
	global_load_b64 v[6:7], v1, s[10:11] offset:40
	global_load_b64 v[16:17], v1, s[10:11]
	s_mov_b32 s14, exec_lo
	s_wait_loadcnt 0x1
	v_and_b32_e32 v6, v6, v18
	v_and_b32_e32 v7, v7, v19
	s_delay_alu instid0(VALU_DEP_1) | instskip(SKIP_1) | instid1(VALU_DEP_1)
	v_mul_u64_e32 v[6:7], 24, v[6:7]
	s_wait_loadcnt 0x0
	v_add_nc_u64_e32 v[6:7], v[16:17], v[6:7]
	global_load_b64 v[16:17], v[6:7], off scope:SCOPE_SYS
	s_wait_xcnt 0x0
	s_wait_loadcnt 0x0
	global_atomic_cmpswap_b64 v[6:7], v1, v[16:19], s[10:11] offset:24 th:TH_ATOMIC_RETURN scope:SCOPE_SYS
	s_wait_loadcnt 0x0
	global_inv scope:SCOPE_SYS
	s_wait_xcnt 0x0
	v_cmpx_ne_u64_e64 v[6:7], v[18:19]
	s_cbranch_execz .LBB3_487
; %bb.484:                              ;   in Loop: Header=BB3_5 Depth=1
	s_mov_b32 s15, 0
.LBB3_485:                              ;   Parent Loop BB3_5 Depth=1
                                        ; =>  This Inner Loop Header: Depth=2
	s_sleep 1
	s_clause 0x1
	global_load_b64 v[16:17], v1, s[10:11] offset:40
	global_load_b64 v[22:23], v1, s[10:11]
	v_mov_b64_e32 v[18:19], v[6:7]
	s_wait_loadcnt 0x1
	s_delay_alu instid0(VALU_DEP_1) | instskip(SKIP_1) | instid1(VALU_DEP_1)
	v_and_b32_e32 v0, v16, v18
	s_wait_loadcnt 0x0
	v_mad_nc_u64_u32 v[6:7], v0, 24, v[22:23]
	s_delay_alu instid0(VALU_DEP_3) | instskip(NEXT) | instid1(VALU_DEP_1)
	v_and_b32_e32 v0, v17, v19
	v_mad_u32 v7, v0, 24, v7
	global_load_b64 v[16:17], v[6:7], off scope:SCOPE_SYS
	s_wait_xcnt 0x0
	s_wait_loadcnt 0x0
	global_atomic_cmpswap_b64 v[6:7], v1, v[16:19], s[10:11] offset:24 th:TH_ATOMIC_RETURN scope:SCOPE_SYS
	s_wait_loadcnt 0x0
	global_inv scope:SCOPE_SYS
	v_cmp_eq_u64_e32 vcc_lo, v[6:7], v[18:19]
	s_or_b32 s15, vcc_lo, s15
	s_wait_xcnt 0x0
	s_and_not1_b32 exec_lo, exec_lo, s15
	s_cbranch_execnz .LBB3_485
; %bb.486:                              ;   in Loop: Header=BB3_5 Depth=1
	s_or_b32 exec_lo, exec_lo, s15
.LBB3_487:                              ;   in Loop: Header=BB3_5 Depth=1
	s_delay_alu instid0(SALU_CYCLE_1)
	s_or_b32 exec_lo, exec_lo, s14
.LBB3_488:                              ;   in Loop: Header=BB3_5 Depth=1
	s_delay_alu instid0(SALU_CYCLE_1)
	s_or_b32 exec_lo, exec_lo, s3
	global_load_b64 v[22:23], v1, s[10:11] offset:40
	s_wait_loadcnt 0x1
	global_load_b128 v[16:19], v1, s[10:11]
	v_readfirstlane_b32 s14, v6
	v_readfirstlane_b32 s15, v7
	s_mov_b32 s3, exec_lo
	s_wait_loadcnt 0x1
	v_and_b32_e32 v22, s14, v22
	v_and_b32_e32 v23, s15, v23
	s_delay_alu instid0(VALU_DEP_1) | instskip(SKIP_1) | instid1(VALU_DEP_1)
	v_mul_u64_e32 v[6:7], 24, v[22:23]
	s_wait_loadcnt 0x0
	v_add_nc_u64_e32 v[6:7], v[16:17], v[6:7]
	s_wait_xcnt 0x0
	s_and_saveexec_b32 s16, s2
	s_cbranch_execz .LBB3_490
; %bb.489:                              ;   in Loop: Header=BB3_5 Depth=1
	v_mov_b32_e32 v0, s3
	global_store_b128 v[6:7], v[0:3], off offset:8
.LBB3_490:                              ;   in Loop: Header=BB3_5 Depth=1
	s_wait_xcnt 0x0
	s_or_b32 exec_lo, exec_lo, s16
	v_lshlrev_b64_e32 v[22:23], 12, v[22:23]
	v_mov_b64_e32 v[28:29], s[6:7]
	v_mov_b64_e32 v[26:27], s[4:5]
	v_and_or_b32 v20, 0xffffff1f, v20, 32
	s_delay_alu instid0(VALU_DEP_4) | instskip(SKIP_1) | instid1(VALU_DEP_2)
	v_add_nc_u64_e32 v[24:25], v[18:19], v[22:23]
	v_dual_mov_b32 v22, v1 :: v_dual_mov_b32 v23, v1
	v_readfirstlane_b32 s16, v24
	s_delay_alu instid0(VALU_DEP_3)
	v_readfirstlane_b32 s17, v25
	s_clause 0x3
	global_store_b128 v42, v[20:23], s[16:17]
	global_store_b128 v42, v[26:29], s[16:17] offset:16
	global_store_b128 v42, v[26:29], s[16:17] offset:32
	;; [unrolled: 1-line block ×3, first 2 shown]
	s_wait_xcnt 0x0
	s_and_saveexec_b32 s3, s2
	s_cbranch_execz .LBB3_498
; %bb.491:                              ;   in Loop: Header=BB3_5 Depth=1
	s_clause 0x1
	global_load_b64 v[28:29], v1, s[10:11] offset:32 scope:SCOPE_SYS
	global_load_b64 v[18:19], v1, s[10:11] offset:40
	s_mov_b32 s16, exec_lo
	v_dual_mov_b32 v26, s14 :: v_dual_mov_b32 v27, s15
	s_wait_loadcnt 0x0
	v_and_b32_e32 v19, s15, v19
	v_and_b32_e32 v18, s14, v18
	s_delay_alu instid0(VALU_DEP_1) | instskip(NEXT) | instid1(VALU_DEP_1)
	v_mul_u64_e32 v[18:19], 24, v[18:19]
	v_add_nc_u64_e32 v[20:21], v[16:17], v[18:19]
	global_store_b64 v[20:21], v[28:29], off
	global_wb scope:SCOPE_SYS
	s_wait_storecnt 0x0
	s_wait_xcnt 0x0
	global_atomic_cmpswap_b64 v[18:19], v1, v[26:29], s[10:11] offset:32 th:TH_ATOMIC_RETURN scope:SCOPE_SYS
	s_wait_loadcnt 0x0
	s_wait_xcnt 0x0
	v_cmpx_ne_u64_e64 v[18:19], v[28:29]
	s_cbranch_execz .LBB3_494
; %bb.492:                              ;   in Loop: Header=BB3_5 Depth=1
	s_mov_b32 s17, 0
.LBB3_493:                              ;   Parent Loop BB3_5 Depth=1
                                        ; =>  This Inner Loop Header: Depth=2
	v_dual_mov_b32 v16, s14 :: v_dual_mov_b32 v17, s15
	s_sleep 1
	global_store_b64 v[20:21], v[18:19], off
	global_wb scope:SCOPE_SYS
	s_wait_storecnt 0x0
	s_wait_xcnt 0x0
	global_atomic_cmpswap_b64 v[16:17], v1, v[16:19], s[10:11] offset:32 th:TH_ATOMIC_RETURN scope:SCOPE_SYS
	s_wait_loadcnt 0x0
	v_cmp_eq_u64_e32 vcc_lo, v[16:17], v[18:19]
	s_wait_xcnt 0x0
	v_mov_b64_e32 v[18:19], v[16:17]
	s_or_b32 s17, vcc_lo, s17
	s_delay_alu instid0(SALU_CYCLE_1)
	s_and_not1_b32 exec_lo, exec_lo, s17
	s_cbranch_execnz .LBB3_493
.LBB3_494:                              ;   in Loop: Header=BB3_5 Depth=1
	s_or_b32 exec_lo, exec_lo, s16
	global_load_b64 v[16:17], v1, s[10:11] offset:16
	s_mov_b32 s17, exec_lo
	s_mov_b32 s16, exec_lo
	v_mbcnt_lo_u32_b32 v0, s17, 0
	s_wait_xcnt 0x0
	s_delay_alu instid0(VALU_DEP_1)
	v_cmpx_eq_u32_e32 0, v0
	s_cbranch_execz .LBB3_496
; %bb.495:                              ;   in Loop: Header=BB3_5 Depth=1
	s_bcnt1_i32_b32 s17, s17
	s_delay_alu instid0(SALU_CYCLE_1)
	v_mov_b32_e32 v0, s17
	global_wb scope:SCOPE_SYS
	s_wait_loadcnt 0x0
	s_wait_storecnt 0x0
	global_atomic_add_u64 v[16:17], v[0:1], off offset:8 scope:SCOPE_SYS
.LBB3_496:                              ;   in Loop: Header=BB3_5 Depth=1
	s_wait_xcnt 0x0
	s_or_b32 exec_lo, exec_lo, s16
	s_wait_loadcnt 0x0
	global_load_b64 v[18:19], v[16:17], off offset:16
	s_wait_loadcnt 0x0
	v_cmp_eq_u64_e32 vcc_lo, 0, v[18:19]
	s_cbranch_vccnz .LBB3_498
; %bb.497:                              ;   in Loop: Header=BB3_5 Depth=1
	global_load_b32 v0, v[16:17], off offset:24
	s_wait_loadcnt 0x0
	v_readfirstlane_b32 s16, v0
	global_wb scope:SCOPE_SYS
	s_wait_storecnt 0x0
	s_wait_xcnt 0x0
	global_store_b64 v[18:19], v[0:1], off scope:SCOPE_SYS
	s_and_b32 m0, s16, 0xffffff
	s_sendmsg sendmsg(MSG_INTERRUPT)
.LBB3_498:                              ;   in Loop: Header=BB3_5 Depth=1
	s_wait_xcnt 0x0
	s_or_b32 exec_lo, exec_lo, s3
	v_mov_b32_e32 v43, v1
	s_delay_alu instid0(VALU_DEP_1)
	v_add_nc_u64_e32 v[16:17], v[24:25], v[42:43]
	s_branch .LBB3_502
.LBB3_499:                              ;   in Loop: Header=BB3_502 Depth=2
	s_wait_xcnt 0x0
	s_or_b32 exec_lo, exec_lo, s3
	s_delay_alu instid0(VALU_DEP_1)
	v_readfirstlane_b32 s3, v0
	s_cmp_eq_u32 s3, 0
	s_cbranch_scc1 .LBB3_501
; %bb.500:                              ;   in Loop: Header=BB3_502 Depth=2
	s_sleep 1
	s_cbranch_execnz .LBB3_502
	s_branch .LBB3_504
.LBB3_501:                              ;   in Loop: Header=BB3_5 Depth=1
	s_branch .LBB3_504
.LBB3_502:                              ;   Parent Loop BB3_5 Depth=1
                                        ; =>  This Inner Loop Header: Depth=2
	v_mov_b32_e32 v0, 1
	s_and_saveexec_b32 s3, s2
	s_cbranch_execz .LBB3_499
; %bb.503:                              ;   in Loop: Header=BB3_502 Depth=2
	global_load_b32 v0, v[6:7], off offset:20 scope:SCOPE_SYS
	s_wait_loadcnt 0x0
	global_inv scope:SCOPE_SYS
	v_and_b32_e32 v0, 1, v0
	s_branch .LBB3_499
.LBB3_504:                              ;   in Loop: Header=BB3_5 Depth=1
	global_load_b64 v[16:17], v[16:17], off
	s_wait_xcnt 0x0
	s_and_saveexec_b32 s16, s2
	s_cbranch_execz .LBB3_508
; %bb.505:                              ;   in Loop: Header=BB3_5 Depth=1
	s_clause 0x2
	global_load_b64 v[6:7], v1, s[10:11] offset:40
	global_load_b64 v[22:23], v1, s[10:11] offset:24 scope:SCOPE_SYS
	global_load_b64 v[18:19], v1, s[10:11]
	s_wait_loadcnt 0x2
	v_readfirstlane_b32 s18, v6
	v_readfirstlane_b32 s19, v7
	s_add_nc_u64 s[2:3], s[18:19], 1
	s_delay_alu instid0(SALU_CYCLE_1) | instskip(NEXT) | instid1(SALU_CYCLE_1)
	s_add_nc_u64 s[14:15], s[2:3], s[14:15]
	s_cmp_eq_u64 s[14:15], 0
	s_cselect_b32 s3, s3, s15
	s_cselect_b32 s2, s2, s14
	s_delay_alu instid0(SALU_CYCLE_1) | instskip(SKIP_1) | instid1(SALU_CYCLE_1)
	v_dual_mov_b32 v21, s3 :: v_dual_mov_b32 v20, s2
	s_and_b64 s[14:15], s[2:3], s[18:19]
	s_mul_u64 s[14:15], s[14:15], 24
	s_wait_loadcnt 0x0
	v_add_nc_u64_e32 v[6:7], s[14:15], v[18:19]
	global_store_b64 v[6:7], v[22:23], off
	global_wb scope:SCOPE_SYS
	s_wait_storecnt 0x0
	s_wait_xcnt 0x0
	global_atomic_cmpswap_b64 v[20:21], v1, v[20:23], s[10:11] offset:24 th:TH_ATOMIC_RETURN scope:SCOPE_SYS
	s_wait_loadcnt 0x0
	v_cmp_ne_u64_e32 vcc_lo, v[20:21], v[22:23]
	s_wait_xcnt 0x0
	s_and_b32 exec_lo, exec_lo, vcc_lo
	s_cbranch_execz .LBB3_508
; %bb.506:                              ;   in Loop: Header=BB3_5 Depth=1
	s_mov_b32 s14, 0
.LBB3_507:                              ;   Parent Loop BB3_5 Depth=1
                                        ; =>  This Inner Loop Header: Depth=2
	v_dual_mov_b32 v18, s2 :: v_dual_mov_b32 v19, s3
	s_sleep 1
	global_store_b64 v[6:7], v[20:21], off
	global_wb scope:SCOPE_SYS
	s_wait_storecnt 0x0
	s_wait_xcnt 0x0
	global_atomic_cmpswap_b64 v[18:19], v1, v[18:21], s[10:11] offset:24 th:TH_ATOMIC_RETURN scope:SCOPE_SYS
	s_wait_loadcnt 0x0
	v_cmp_eq_u64_e32 vcc_lo, v[18:19], v[20:21]
	s_wait_xcnt 0x0
	v_mov_b64_e32 v[20:21], v[18:19]
	s_or_b32 s14, vcc_lo, s14
	s_delay_alu instid0(SALU_CYCLE_1)
	s_and_not1_b32 exec_lo, exec_lo, s14
	s_cbranch_execnz .LBB3_507
.LBB3_508:                              ;   in Loop: Header=BB3_5 Depth=1
	s_or_b32 exec_lo, exec_lo, s16
	s_delay_alu instid0(SALU_CYCLE_1)
	s_and_b32 vcc_lo, exec_lo, s26
	s_cbranch_vccnz .LBB3_403
.LBB3_509:                              ;   in Loop: Header=BB3_5 Depth=1
                                        ; implicit-def: $vgpr18_vgpr19
	s_cbranch_execz .LBB3_537
; %bb.510:                              ;   in Loop: Header=BB3_5 Depth=1
	v_readfirstlane_b32 s2, v40
	v_mov_b64_e32 v[6:7], 0
	s_delay_alu instid0(VALU_DEP_2)
	v_cmp_eq_u32_e64 s2, s2, v40
	s_and_saveexec_b32 s3, s2
	s_cbranch_execz .LBB3_516
; %bb.511:                              ;   in Loop: Header=BB3_5 Depth=1
	s_wait_loadcnt 0x0
	global_load_b64 v[20:21], v1, s[10:11] offset:24 scope:SCOPE_SYS
	s_wait_loadcnt 0x0
	global_inv scope:SCOPE_SYS
	s_clause 0x1
	global_load_b64 v[6:7], v1, s[10:11] offset:40
	global_load_b64 v[18:19], v1, s[10:11]
	s_mov_b32 s14, exec_lo
	s_wait_loadcnt 0x1
	v_and_b32_e32 v6, v6, v20
	v_and_b32_e32 v7, v7, v21
	s_delay_alu instid0(VALU_DEP_1) | instskip(SKIP_1) | instid1(VALU_DEP_1)
	v_mul_u64_e32 v[6:7], 24, v[6:7]
	s_wait_loadcnt 0x0
	v_add_nc_u64_e32 v[6:7], v[18:19], v[6:7]
	global_load_b64 v[18:19], v[6:7], off scope:SCOPE_SYS
	s_wait_xcnt 0x0
	s_wait_loadcnt 0x0
	global_atomic_cmpswap_b64 v[6:7], v1, v[18:21], s[10:11] offset:24 th:TH_ATOMIC_RETURN scope:SCOPE_SYS
	s_wait_loadcnt 0x0
	global_inv scope:SCOPE_SYS
	s_wait_xcnt 0x0
	v_cmpx_ne_u64_e64 v[6:7], v[20:21]
	s_cbranch_execz .LBB3_515
; %bb.512:                              ;   in Loop: Header=BB3_5 Depth=1
	s_mov_b32 s15, 0
.LBB3_513:                              ;   Parent Loop BB3_5 Depth=1
                                        ; =>  This Inner Loop Header: Depth=2
	s_sleep 1
	s_clause 0x1
	global_load_b64 v[18:19], v1, s[10:11] offset:40
	global_load_b64 v[22:23], v1, s[10:11]
	v_mov_b64_e32 v[20:21], v[6:7]
	s_wait_loadcnt 0x1
	s_delay_alu instid0(VALU_DEP_1) | instskip(SKIP_1) | instid1(VALU_DEP_1)
	v_and_b32_e32 v0, v18, v20
	s_wait_loadcnt 0x0
	v_mad_nc_u64_u32 v[6:7], v0, 24, v[22:23]
	s_delay_alu instid0(VALU_DEP_3) | instskip(NEXT) | instid1(VALU_DEP_1)
	v_and_b32_e32 v0, v19, v21
	v_mad_u32 v7, v0, 24, v7
	global_load_b64 v[18:19], v[6:7], off scope:SCOPE_SYS
	s_wait_xcnt 0x0
	s_wait_loadcnt 0x0
	global_atomic_cmpswap_b64 v[6:7], v1, v[18:21], s[10:11] offset:24 th:TH_ATOMIC_RETURN scope:SCOPE_SYS
	s_wait_loadcnt 0x0
	global_inv scope:SCOPE_SYS
	v_cmp_eq_u64_e32 vcc_lo, v[6:7], v[20:21]
	s_or_b32 s15, vcc_lo, s15
	s_wait_xcnt 0x0
	s_and_not1_b32 exec_lo, exec_lo, s15
	s_cbranch_execnz .LBB3_513
; %bb.514:                              ;   in Loop: Header=BB3_5 Depth=1
	s_or_b32 exec_lo, exec_lo, s15
.LBB3_515:                              ;   in Loop: Header=BB3_5 Depth=1
	s_delay_alu instid0(SALU_CYCLE_1)
	s_or_b32 exec_lo, exec_lo, s14
.LBB3_516:                              ;   in Loop: Header=BB3_5 Depth=1
	s_delay_alu instid0(SALU_CYCLE_1)
	s_or_b32 exec_lo, exec_lo, s3
	s_wait_loadcnt 0x0
	s_clause 0x1
	global_load_b64 v[18:19], v1, s[10:11] offset:40
	global_load_b128 v[20:23], v1, s[10:11]
	v_readfirstlane_b32 s14, v6
	v_readfirstlane_b32 s15, v7
	s_mov_b32 s3, exec_lo
	s_wait_loadcnt 0x1
	v_and_b32_e32 v18, s14, v18
	v_and_b32_e32 v19, s15, v19
	s_delay_alu instid0(VALU_DEP_1) | instskip(SKIP_1) | instid1(VALU_DEP_1)
	v_mul_u64_e32 v[6:7], 24, v[18:19]
	s_wait_loadcnt 0x0
	v_add_nc_u64_e32 v[6:7], v[20:21], v[6:7]
	s_wait_xcnt 0x0
	s_and_saveexec_b32 s16, s2
	s_cbranch_execz .LBB3_518
; %bb.517:                              ;   in Loop: Header=BB3_5 Depth=1
	v_mov_b32_e32 v0, s3
	global_store_b128 v[6:7], v[0:3], off offset:8
.LBB3_518:                              ;   in Loop: Header=BB3_5 Depth=1
	s_wait_xcnt 0x0
	s_or_b32 exec_lo, exec_lo, s16
	v_lshlrev_b64_e32 v[18:19], 12, v[18:19]
	v_mov_b64_e32 v[26:27], s[6:7]
	v_mov_b64_e32 v[24:25], s[4:5]
	v_and_or_b32 v16, 0xffffff1f, v16, 32
	s_delay_alu instid0(VALU_DEP_4) | instskip(SKIP_1) | instid1(VALU_DEP_2)
	v_add_nc_u64_e32 v[22:23], v[22:23], v[18:19]
	v_dual_mov_b32 v18, v1 :: v_dual_mov_b32 v19, v1
	v_readfirstlane_b32 s16, v22
	s_delay_alu instid0(VALU_DEP_3)
	v_readfirstlane_b32 s17, v23
	s_clause 0x3
	global_store_b128 v42, v[16:19], s[16:17]
	global_store_b128 v42, v[24:27], s[16:17] offset:16
	global_store_b128 v42, v[24:27], s[16:17] offset:32
	;; [unrolled: 1-line block ×3, first 2 shown]
	s_wait_xcnt 0x0
	s_and_saveexec_b32 s3, s2
	s_cbranch_execz .LBB3_526
; %bb.519:                              ;   in Loop: Header=BB3_5 Depth=1
	s_clause 0x1
	global_load_b64 v[26:27], v1, s[10:11] offset:32 scope:SCOPE_SYS
	global_load_b64 v[16:17], v1, s[10:11] offset:40
	s_mov_b32 s16, exec_lo
	v_dual_mov_b32 v24, s14 :: v_dual_mov_b32 v25, s15
	s_wait_loadcnt 0x0
	v_and_b32_e32 v17, s15, v17
	v_and_b32_e32 v16, s14, v16
	s_delay_alu instid0(VALU_DEP_1) | instskip(NEXT) | instid1(VALU_DEP_1)
	v_mul_u64_e32 v[16:17], 24, v[16:17]
	v_add_nc_u64_e32 v[20:21], v[20:21], v[16:17]
	global_store_b64 v[20:21], v[26:27], off
	global_wb scope:SCOPE_SYS
	s_wait_storecnt 0x0
	s_wait_xcnt 0x0
	global_atomic_cmpswap_b64 v[18:19], v1, v[24:27], s[10:11] offset:32 th:TH_ATOMIC_RETURN scope:SCOPE_SYS
	s_wait_loadcnt 0x0
	s_wait_xcnt 0x0
	v_cmpx_ne_u64_e64 v[18:19], v[26:27]
	s_cbranch_execz .LBB3_522
; %bb.520:                              ;   in Loop: Header=BB3_5 Depth=1
	s_mov_b32 s17, 0
.LBB3_521:                              ;   Parent Loop BB3_5 Depth=1
                                        ; =>  This Inner Loop Header: Depth=2
	v_dual_mov_b32 v16, s14 :: v_dual_mov_b32 v17, s15
	s_sleep 1
	global_store_b64 v[20:21], v[18:19], off
	global_wb scope:SCOPE_SYS
	s_wait_storecnt 0x0
	s_wait_xcnt 0x0
	global_atomic_cmpswap_b64 v[16:17], v1, v[16:19], s[10:11] offset:32 th:TH_ATOMIC_RETURN scope:SCOPE_SYS
	s_wait_loadcnt 0x0
	v_cmp_eq_u64_e32 vcc_lo, v[16:17], v[18:19]
	s_wait_xcnt 0x0
	v_mov_b64_e32 v[18:19], v[16:17]
	s_or_b32 s17, vcc_lo, s17
	s_delay_alu instid0(SALU_CYCLE_1)
	s_and_not1_b32 exec_lo, exec_lo, s17
	s_cbranch_execnz .LBB3_521
.LBB3_522:                              ;   in Loop: Header=BB3_5 Depth=1
	s_or_b32 exec_lo, exec_lo, s16
	global_load_b64 v[16:17], v1, s[10:11] offset:16
	s_mov_b32 s17, exec_lo
	s_mov_b32 s16, exec_lo
	v_mbcnt_lo_u32_b32 v0, s17, 0
	s_wait_xcnt 0x0
	s_delay_alu instid0(VALU_DEP_1)
	v_cmpx_eq_u32_e32 0, v0
	s_cbranch_execz .LBB3_524
; %bb.523:                              ;   in Loop: Header=BB3_5 Depth=1
	s_bcnt1_i32_b32 s17, s17
	s_delay_alu instid0(SALU_CYCLE_1)
	v_mov_b32_e32 v0, s17
	global_wb scope:SCOPE_SYS
	s_wait_loadcnt 0x0
	s_wait_storecnt 0x0
	global_atomic_add_u64 v[16:17], v[0:1], off offset:8 scope:SCOPE_SYS
.LBB3_524:                              ;   in Loop: Header=BB3_5 Depth=1
	s_wait_xcnt 0x0
	s_or_b32 exec_lo, exec_lo, s16
	s_wait_loadcnt 0x0
	global_load_b64 v[18:19], v[16:17], off offset:16
	s_wait_loadcnt 0x0
	v_cmp_eq_u64_e32 vcc_lo, 0, v[18:19]
	s_cbranch_vccnz .LBB3_526
; %bb.525:                              ;   in Loop: Header=BB3_5 Depth=1
	global_load_b32 v0, v[16:17], off offset:24
	s_wait_loadcnt 0x0
	v_readfirstlane_b32 s16, v0
	global_wb scope:SCOPE_SYS
	s_wait_storecnt 0x0
	s_wait_xcnt 0x0
	global_store_b64 v[18:19], v[0:1], off scope:SCOPE_SYS
	s_and_b32 m0, s16, 0xffffff
	s_sendmsg sendmsg(MSG_INTERRUPT)
.LBB3_526:                              ;   in Loop: Header=BB3_5 Depth=1
	s_wait_xcnt 0x0
	s_or_b32 exec_lo, exec_lo, s3
	v_mov_b32_e32 v43, v1
	s_delay_alu instid0(VALU_DEP_1)
	v_add_nc_u64_e32 v[16:17], v[22:23], v[42:43]
	s_branch .LBB3_530
.LBB3_527:                              ;   in Loop: Header=BB3_530 Depth=2
	s_wait_xcnt 0x0
	s_or_b32 exec_lo, exec_lo, s3
	s_delay_alu instid0(VALU_DEP_1)
	v_readfirstlane_b32 s3, v0
	s_cmp_eq_u32 s3, 0
	s_cbranch_scc1 .LBB3_529
; %bb.528:                              ;   in Loop: Header=BB3_530 Depth=2
	s_sleep 1
	s_cbranch_execnz .LBB3_530
	s_branch .LBB3_532
.LBB3_529:                              ;   in Loop: Header=BB3_5 Depth=1
	s_branch .LBB3_532
.LBB3_530:                              ;   Parent Loop BB3_5 Depth=1
                                        ; =>  This Inner Loop Header: Depth=2
	v_mov_b32_e32 v0, 1
	s_and_saveexec_b32 s3, s2
	s_cbranch_execz .LBB3_527
; %bb.531:                              ;   in Loop: Header=BB3_530 Depth=2
	global_load_b32 v0, v[6:7], off offset:20 scope:SCOPE_SYS
	s_wait_loadcnt 0x0
	global_inv scope:SCOPE_SYS
	v_and_b32_e32 v0, 1, v0
	s_branch .LBB3_527
.LBB3_532:                              ;   in Loop: Header=BB3_5 Depth=1
	global_load_b64 v[18:19], v[16:17], off
	s_wait_xcnt 0x0
	s_and_saveexec_b32 s16, s2
	s_cbranch_execz .LBB3_536
; %bb.533:                              ;   in Loop: Header=BB3_5 Depth=1
	s_clause 0x2
	global_load_b64 v[6:7], v1, s[10:11] offset:40
	global_load_b64 v[24:25], v1, s[10:11] offset:24 scope:SCOPE_SYS
	global_load_b64 v[16:17], v1, s[10:11]
	s_wait_loadcnt 0x2
	v_readfirstlane_b32 s18, v6
	v_readfirstlane_b32 s19, v7
	s_add_nc_u64 s[2:3], s[18:19], 1
	s_delay_alu instid0(SALU_CYCLE_1) | instskip(NEXT) | instid1(SALU_CYCLE_1)
	s_add_nc_u64 s[14:15], s[2:3], s[14:15]
	s_cmp_eq_u64 s[14:15], 0
	s_cselect_b32 s3, s3, s15
	s_cselect_b32 s2, s2, s14
	s_delay_alu instid0(SALU_CYCLE_1) | instskip(SKIP_1) | instid1(SALU_CYCLE_1)
	v_dual_mov_b32 v23, s3 :: v_dual_mov_b32 v22, s2
	s_and_b64 s[14:15], s[2:3], s[18:19]
	s_mul_u64 s[14:15], s[14:15], 24
	s_wait_loadcnt 0x0
	v_add_nc_u64_e32 v[6:7], s[14:15], v[16:17]
	global_store_b64 v[6:7], v[24:25], off
	global_wb scope:SCOPE_SYS
	s_wait_storecnt 0x0
	s_wait_xcnt 0x0
	global_atomic_cmpswap_b64 v[22:23], v1, v[22:25], s[10:11] offset:24 th:TH_ATOMIC_RETURN scope:SCOPE_SYS
	s_wait_loadcnt 0x0
	v_cmp_ne_u64_e32 vcc_lo, v[22:23], v[24:25]
	s_wait_xcnt 0x0
	s_and_b32 exec_lo, exec_lo, vcc_lo
	s_cbranch_execz .LBB3_536
; %bb.534:                              ;   in Loop: Header=BB3_5 Depth=1
	s_mov_b32 s14, 0
.LBB3_535:                              ;   Parent Loop BB3_5 Depth=1
                                        ; =>  This Inner Loop Header: Depth=2
	v_dual_mov_b32 v20, s2 :: v_dual_mov_b32 v21, s3
	s_sleep 1
	global_store_b64 v[6:7], v[22:23], off
	global_wb scope:SCOPE_SYS
	s_wait_storecnt 0x0
	s_wait_xcnt 0x0
	global_atomic_cmpswap_b64 v[16:17], v1, v[20:23], s[10:11] offset:24 th:TH_ATOMIC_RETURN scope:SCOPE_SYS
	s_wait_loadcnt 0x0
	v_cmp_eq_u64_e32 vcc_lo, v[16:17], v[22:23]
	s_wait_xcnt 0x0
	v_mov_b64_e32 v[22:23], v[16:17]
	s_or_b32 s14, vcc_lo, s14
	s_delay_alu instid0(SALU_CYCLE_1)
	s_and_not1_b32 exec_lo, exec_lo, s14
	s_cbranch_execnz .LBB3_535
.LBB3_536:                              ;   in Loop: Header=BB3_5 Depth=1
	s_or_b32 exec_lo, exec_lo, s16
.LBB3_537:                              ;   in Loop: Header=BB3_5 Depth=1
	v_readfirstlane_b32 s2, v40
	v_mov_b64_e32 v[6:7], 0
	s_delay_alu instid0(VALU_DEP_2)
	v_cmp_eq_u32_e64 s2, s2, v40
	s_and_saveexec_b32 s3, s2
	s_cbranch_execz .LBB3_543
; %bb.538:                              ;   in Loop: Header=BB3_5 Depth=1
	global_load_b64 v[22:23], v1, s[10:11] offset:24 scope:SCOPE_SYS
	s_wait_loadcnt 0x0
	global_inv scope:SCOPE_SYS
	s_clause 0x1
	global_load_b64 v[6:7], v1, s[10:11] offset:40
	global_load_b64 v[16:17], v1, s[10:11]
	s_mov_b32 s14, exec_lo
	s_wait_loadcnt 0x1
	v_and_b32_e32 v6, v6, v22
	v_and_b32_e32 v7, v7, v23
	s_delay_alu instid0(VALU_DEP_1) | instskip(SKIP_1) | instid1(VALU_DEP_1)
	v_mul_u64_e32 v[6:7], 24, v[6:7]
	s_wait_loadcnt 0x0
	v_add_nc_u64_e32 v[6:7], v[16:17], v[6:7]
	global_load_b64 v[20:21], v[6:7], off scope:SCOPE_SYS
	s_wait_xcnt 0x0
	s_wait_loadcnt 0x0
	global_atomic_cmpswap_b64 v[6:7], v1, v[20:23], s[10:11] offset:24 th:TH_ATOMIC_RETURN scope:SCOPE_SYS
	s_wait_loadcnt 0x0
	global_inv scope:SCOPE_SYS
	s_wait_xcnt 0x0
	v_cmpx_ne_u64_e64 v[6:7], v[22:23]
	s_cbranch_execz .LBB3_542
; %bb.539:                              ;   in Loop: Header=BB3_5 Depth=1
	s_mov_b32 s15, 0
.LBB3_540:                              ;   Parent Loop BB3_5 Depth=1
                                        ; =>  This Inner Loop Header: Depth=2
	s_sleep 1
	s_clause 0x1
	global_load_b64 v[16:17], v1, s[10:11] offset:40
	global_load_b64 v[20:21], v1, s[10:11]
	v_mov_b64_e32 v[22:23], v[6:7]
	s_wait_loadcnt 0x1
	s_delay_alu instid0(VALU_DEP_1) | instskip(SKIP_1) | instid1(VALU_DEP_1)
	v_and_b32_e32 v0, v16, v22
	s_wait_loadcnt 0x0
	v_mad_nc_u64_u32 v[6:7], v0, 24, v[20:21]
	s_delay_alu instid0(VALU_DEP_3) | instskip(NEXT) | instid1(VALU_DEP_1)
	v_and_b32_e32 v0, v17, v23
	v_mad_u32 v7, v0, 24, v7
	global_load_b64 v[20:21], v[6:7], off scope:SCOPE_SYS
	s_wait_xcnt 0x0
	s_wait_loadcnt 0x0
	global_atomic_cmpswap_b64 v[6:7], v1, v[20:23], s[10:11] offset:24 th:TH_ATOMIC_RETURN scope:SCOPE_SYS
	s_wait_loadcnt 0x0
	global_inv scope:SCOPE_SYS
	v_cmp_eq_u64_e32 vcc_lo, v[6:7], v[22:23]
	s_or_b32 s15, vcc_lo, s15
	s_wait_xcnt 0x0
	s_and_not1_b32 exec_lo, exec_lo, s15
	s_cbranch_execnz .LBB3_540
; %bb.541:                              ;   in Loop: Header=BB3_5 Depth=1
	s_or_b32 exec_lo, exec_lo, s15
.LBB3_542:                              ;   in Loop: Header=BB3_5 Depth=1
	s_delay_alu instid0(SALU_CYCLE_1)
	s_or_b32 exec_lo, exec_lo, s14
.LBB3_543:                              ;   in Loop: Header=BB3_5 Depth=1
	s_delay_alu instid0(SALU_CYCLE_1)
	s_or_b32 exec_lo, exec_lo, s3
	s_wait_loadcnt 0x0
	s_clause 0x1
	global_load_b64 v[16:17], v1, s[10:11] offset:40
	global_load_b128 v[22:25], v1, s[10:11]
	v_readfirstlane_b32 s14, v6
	v_readfirstlane_b32 s15, v7
	s_mov_b32 s3, exec_lo
	s_wait_loadcnt 0x1
	v_and_b32_e32 v16, s14, v16
	v_and_b32_e32 v17, s15, v17
	s_delay_alu instid0(VALU_DEP_1) | instskip(SKIP_1) | instid1(VALU_DEP_1)
	v_mul_u64_e32 v[6:7], 24, v[16:17]
	s_wait_loadcnt 0x0
	v_add_nc_u64_e32 v[6:7], v[22:23], v[6:7]
	s_wait_xcnt 0x0
	s_and_saveexec_b32 s16, s2
	s_cbranch_execz .LBB3_545
; %bb.544:                              ;   in Loop: Header=BB3_5 Depth=1
	v_mov_b32_e32 v0, s3
	global_store_b128 v[6:7], v[0:3], off offset:8
.LBB3_545:                              ;   in Loop: Header=BB3_5 Depth=1
	s_wait_xcnt 0x0
	s_or_b32 exec_lo, exec_lo, s16
	v_lshlrev_b64_e32 v[16:17], 12, v[16:17]
	v_mov_b64_e32 v[28:29], s[6:7]
	v_mov_b64_e32 v[26:27], s[4:5]
	v_and_or_b32 v18, 0xffffff1f, v18, 32
	v_dual_mov_b32 v20, v38 :: v_dual_mov_b32 v21, v39
	v_add_nc_u64_e32 v[24:25], v[24:25], v[16:17]
	s_delay_alu instid0(VALU_DEP_1) | instskip(NEXT) | instid1(VALU_DEP_2)
	v_readfirstlane_b32 s16, v24
	v_readfirstlane_b32 s17, v25
	s_clause 0x3
	global_store_b128 v42, v[18:21], s[16:17]
	global_store_b128 v42, v[26:29], s[16:17] offset:16
	global_store_b128 v42, v[26:29], s[16:17] offset:32
	;; [unrolled: 1-line block ×3, first 2 shown]
	s_wait_xcnt 0x0
	s_and_saveexec_b32 s3, s2
	s_cbranch_execz .LBB3_553
; %bb.546:                              ;   in Loop: Header=BB3_5 Depth=1
	s_clause 0x1
	global_load_b64 v[28:29], v1, s[10:11] offset:32 scope:SCOPE_SYS
	global_load_b64 v[16:17], v1, s[10:11] offset:40
	s_mov_b32 s16, exec_lo
	v_dual_mov_b32 v26, s14 :: v_dual_mov_b32 v27, s15
	s_wait_loadcnt 0x0
	v_and_b32_e32 v17, s15, v17
	v_and_b32_e32 v16, s14, v16
	s_delay_alu instid0(VALU_DEP_1) | instskip(NEXT) | instid1(VALU_DEP_1)
	v_mul_u64_e32 v[16:17], 24, v[16:17]
	v_add_nc_u64_e32 v[20:21], v[22:23], v[16:17]
	global_store_b64 v[20:21], v[28:29], off
	global_wb scope:SCOPE_SYS
	s_wait_storecnt 0x0
	s_wait_xcnt 0x0
	global_atomic_cmpswap_b64 v[18:19], v1, v[26:29], s[10:11] offset:32 th:TH_ATOMIC_RETURN scope:SCOPE_SYS
	s_wait_loadcnt 0x0
	s_wait_xcnt 0x0
	v_cmpx_ne_u64_e64 v[18:19], v[28:29]
	s_cbranch_execz .LBB3_549
; %bb.547:                              ;   in Loop: Header=BB3_5 Depth=1
	s_mov_b32 s17, 0
.LBB3_548:                              ;   Parent Loop BB3_5 Depth=1
                                        ; =>  This Inner Loop Header: Depth=2
	v_dual_mov_b32 v16, s14 :: v_dual_mov_b32 v17, s15
	s_sleep 1
	global_store_b64 v[20:21], v[18:19], off
	global_wb scope:SCOPE_SYS
	s_wait_storecnt 0x0
	s_wait_xcnt 0x0
	global_atomic_cmpswap_b64 v[16:17], v1, v[16:19], s[10:11] offset:32 th:TH_ATOMIC_RETURN scope:SCOPE_SYS
	s_wait_loadcnt 0x0
	v_cmp_eq_u64_e32 vcc_lo, v[16:17], v[18:19]
	s_wait_xcnt 0x0
	v_mov_b64_e32 v[18:19], v[16:17]
	s_or_b32 s17, vcc_lo, s17
	s_delay_alu instid0(SALU_CYCLE_1)
	s_and_not1_b32 exec_lo, exec_lo, s17
	s_cbranch_execnz .LBB3_548
.LBB3_549:                              ;   in Loop: Header=BB3_5 Depth=1
	s_or_b32 exec_lo, exec_lo, s16
	global_load_b64 v[16:17], v1, s[10:11] offset:16
	s_mov_b32 s17, exec_lo
	s_mov_b32 s16, exec_lo
	v_mbcnt_lo_u32_b32 v0, s17, 0
	s_wait_xcnt 0x0
	s_delay_alu instid0(VALU_DEP_1)
	v_cmpx_eq_u32_e32 0, v0
	s_cbranch_execz .LBB3_551
; %bb.550:                              ;   in Loop: Header=BB3_5 Depth=1
	s_bcnt1_i32_b32 s17, s17
	s_delay_alu instid0(SALU_CYCLE_1)
	v_mov_b32_e32 v0, s17
	global_wb scope:SCOPE_SYS
	s_wait_loadcnt 0x0
	s_wait_storecnt 0x0
	global_atomic_add_u64 v[16:17], v[0:1], off offset:8 scope:SCOPE_SYS
.LBB3_551:                              ;   in Loop: Header=BB3_5 Depth=1
	s_wait_xcnt 0x0
	s_or_b32 exec_lo, exec_lo, s16
	s_wait_loadcnt 0x0
	global_load_b64 v[18:19], v[16:17], off offset:16
	s_wait_loadcnt 0x0
	v_cmp_eq_u64_e32 vcc_lo, 0, v[18:19]
	s_cbranch_vccnz .LBB3_553
; %bb.552:                              ;   in Loop: Header=BB3_5 Depth=1
	global_load_b32 v0, v[16:17], off offset:24
	s_wait_loadcnt 0x0
	v_readfirstlane_b32 s16, v0
	global_wb scope:SCOPE_SYS
	s_wait_storecnt 0x0
	s_wait_xcnt 0x0
	global_store_b64 v[18:19], v[0:1], off scope:SCOPE_SYS
	s_and_b32 m0, s16, 0xffffff
	s_sendmsg sendmsg(MSG_INTERRUPT)
.LBB3_553:                              ;   in Loop: Header=BB3_5 Depth=1
	s_wait_xcnt 0x0
	s_or_b32 exec_lo, exec_lo, s3
	v_mov_b32_e32 v43, v1
	s_delay_alu instid0(VALU_DEP_1)
	v_add_nc_u64_e32 v[16:17], v[24:25], v[42:43]
	s_branch .LBB3_557
.LBB3_554:                              ;   in Loop: Header=BB3_557 Depth=2
	s_wait_xcnt 0x0
	s_or_b32 exec_lo, exec_lo, s3
	s_delay_alu instid0(VALU_DEP_1)
	v_readfirstlane_b32 s3, v0
	s_cmp_eq_u32 s3, 0
	s_cbranch_scc1 .LBB3_556
; %bb.555:                              ;   in Loop: Header=BB3_557 Depth=2
	s_sleep 1
	s_cbranch_execnz .LBB3_557
	s_branch .LBB3_559
.LBB3_556:                              ;   in Loop: Header=BB3_5 Depth=1
	s_branch .LBB3_559
.LBB3_557:                              ;   Parent Loop BB3_5 Depth=1
                                        ; =>  This Inner Loop Header: Depth=2
	v_mov_b32_e32 v0, 1
	s_and_saveexec_b32 s3, s2
	s_cbranch_execz .LBB3_554
; %bb.558:                              ;   in Loop: Header=BB3_557 Depth=2
	global_load_b32 v0, v[6:7], off offset:20 scope:SCOPE_SYS
	s_wait_loadcnt 0x0
	global_inv scope:SCOPE_SYS
	v_and_b32_e32 v0, 1, v0
	s_branch .LBB3_554
.LBB3_559:                              ;   in Loop: Header=BB3_5 Depth=1
	global_load_b64 v[16:17], v[16:17], off
	s_wait_xcnt 0x0
	s_and_saveexec_b32 s16, s2
	s_cbranch_execz .LBB3_563
; %bb.560:                              ;   in Loop: Header=BB3_5 Depth=1
	s_clause 0x2
	global_load_b64 v[6:7], v1, s[10:11] offset:40
	global_load_b64 v[22:23], v1, s[10:11] offset:24 scope:SCOPE_SYS
	global_load_b64 v[18:19], v1, s[10:11]
	s_wait_loadcnt 0x2
	v_readfirstlane_b32 s18, v6
	v_readfirstlane_b32 s19, v7
	s_add_nc_u64 s[2:3], s[18:19], 1
	s_delay_alu instid0(SALU_CYCLE_1) | instskip(NEXT) | instid1(SALU_CYCLE_1)
	s_add_nc_u64 s[14:15], s[2:3], s[14:15]
	s_cmp_eq_u64 s[14:15], 0
	s_cselect_b32 s3, s3, s15
	s_cselect_b32 s2, s2, s14
	s_delay_alu instid0(SALU_CYCLE_1) | instskip(SKIP_1) | instid1(SALU_CYCLE_1)
	v_dual_mov_b32 v21, s3 :: v_dual_mov_b32 v20, s2
	s_and_b64 s[14:15], s[2:3], s[18:19]
	s_mul_u64 s[14:15], s[14:15], 24
	s_wait_loadcnt 0x0
	v_add_nc_u64_e32 v[6:7], s[14:15], v[18:19]
	global_store_b64 v[6:7], v[22:23], off
	global_wb scope:SCOPE_SYS
	s_wait_storecnt 0x0
	s_wait_xcnt 0x0
	global_atomic_cmpswap_b64 v[20:21], v1, v[20:23], s[10:11] offset:24 th:TH_ATOMIC_RETURN scope:SCOPE_SYS
	s_wait_loadcnt 0x0
	v_cmp_ne_u64_e32 vcc_lo, v[20:21], v[22:23]
	s_wait_xcnt 0x0
	s_and_b32 exec_lo, exec_lo, vcc_lo
	s_cbranch_execz .LBB3_563
; %bb.561:                              ;   in Loop: Header=BB3_5 Depth=1
	s_mov_b32 s14, 0
.LBB3_562:                              ;   Parent Loop BB3_5 Depth=1
                                        ; =>  This Inner Loop Header: Depth=2
	v_dual_mov_b32 v18, s2 :: v_dual_mov_b32 v19, s3
	s_sleep 1
	global_store_b64 v[6:7], v[20:21], off
	global_wb scope:SCOPE_SYS
	s_wait_storecnt 0x0
	s_wait_xcnt 0x0
	global_atomic_cmpswap_b64 v[18:19], v1, v[18:21], s[10:11] offset:24 th:TH_ATOMIC_RETURN scope:SCOPE_SYS
	s_wait_loadcnt 0x0
	v_cmp_eq_u64_e32 vcc_lo, v[18:19], v[20:21]
	s_wait_xcnt 0x0
	v_mov_b64_e32 v[20:21], v[18:19]
	s_or_b32 s14, vcc_lo, s14
	s_delay_alu instid0(SALU_CYCLE_1)
	s_and_not1_b32 exec_lo, exec_lo, s14
	s_cbranch_execnz .LBB3_562
.LBB3_563:                              ;   in Loop: Header=BB3_5 Depth=1
	s_or_b32 exec_lo, exec_lo, s16
	v_readfirstlane_b32 s2, v40
	v_mov_b64_e32 v[6:7], 0
	s_delay_alu instid0(VALU_DEP_2)
	v_cmp_eq_u32_e64 s2, s2, v40
	s_and_saveexec_b32 s3, s2
	s_cbranch_execz .LBB3_569
; %bb.564:                              ;   in Loop: Header=BB3_5 Depth=1
	global_load_b64 v[20:21], v1, s[10:11] offset:24 scope:SCOPE_SYS
	s_wait_loadcnt 0x0
	global_inv scope:SCOPE_SYS
	s_clause 0x1
	global_load_b64 v[6:7], v1, s[10:11] offset:40
	global_load_b64 v[18:19], v1, s[10:11]
	s_mov_b32 s14, exec_lo
	s_wait_loadcnt 0x1
	v_and_b32_e32 v6, v6, v20
	v_and_b32_e32 v7, v7, v21
	s_delay_alu instid0(VALU_DEP_1) | instskip(SKIP_1) | instid1(VALU_DEP_1)
	v_mul_u64_e32 v[6:7], 24, v[6:7]
	s_wait_loadcnt 0x0
	v_add_nc_u64_e32 v[6:7], v[18:19], v[6:7]
	global_load_b64 v[18:19], v[6:7], off scope:SCOPE_SYS
	s_wait_xcnt 0x0
	s_wait_loadcnt 0x0
	global_atomic_cmpswap_b64 v[6:7], v1, v[18:21], s[10:11] offset:24 th:TH_ATOMIC_RETURN scope:SCOPE_SYS
	s_wait_loadcnt 0x0
	global_inv scope:SCOPE_SYS
	s_wait_xcnt 0x0
	v_cmpx_ne_u64_e64 v[6:7], v[20:21]
	s_cbranch_execz .LBB3_568
; %bb.565:                              ;   in Loop: Header=BB3_5 Depth=1
	s_mov_b32 s15, 0
.LBB3_566:                              ;   Parent Loop BB3_5 Depth=1
                                        ; =>  This Inner Loop Header: Depth=2
	s_sleep 1
	s_clause 0x1
	global_load_b64 v[18:19], v1, s[10:11] offset:40
	global_load_b64 v[22:23], v1, s[10:11]
	v_mov_b64_e32 v[20:21], v[6:7]
	s_wait_loadcnt 0x1
	s_delay_alu instid0(VALU_DEP_1) | instskip(SKIP_1) | instid1(VALU_DEP_1)
	v_and_b32_e32 v0, v18, v20
	s_wait_loadcnt 0x0
	v_mad_nc_u64_u32 v[6:7], v0, 24, v[22:23]
	s_delay_alu instid0(VALU_DEP_3) | instskip(NEXT) | instid1(VALU_DEP_1)
	v_and_b32_e32 v0, v19, v21
	v_mad_u32 v7, v0, 24, v7
	global_load_b64 v[18:19], v[6:7], off scope:SCOPE_SYS
	s_wait_xcnt 0x0
	s_wait_loadcnt 0x0
	global_atomic_cmpswap_b64 v[6:7], v1, v[18:21], s[10:11] offset:24 th:TH_ATOMIC_RETURN scope:SCOPE_SYS
	s_wait_loadcnt 0x0
	global_inv scope:SCOPE_SYS
	v_cmp_eq_u64_e32 vcc_lo, v[6:7], v[20:21]
	s_or_b32 s15, vcc_lo, s15
	s_wait_xcnt 0x0
	s_and_not1_b32 exec_lo, exec_lo, s15
	s_cbranch_execnz .LBB3_566
; %bb.567:                              ;   in Loop: Header=BB3_5 Depth=1
	s_or_b32 exec_lo, exec_lo, s15
.LBB3_568:                              ;   in Loop: Header=BB3_5 Depth=1
	s_delay_alu instid0(SALU_CYCLE_1)
	s_or_b32 exec_lo, exec_lo, s14
.LBB3_569:                              ;   in Loop: Header=BB3_5 Depth=1
	s_delay_alu instid0(SALU_CYCLE_1)
	s_or_b32 exec_lo, exec_lo, s3
	s_clause 0x1
	global_load_b64 v[18:19], v1, s[10:11] offset:40
	global_load_b128 v[20:23], v1, s[10:11]
	v_readfirstlane_b32 s14, v6
	v_readfirstlane_b32 s15, v7
	s_mov_b32 s3, exec_lo
	s_wait_loadcnt 0x1
	v_and_b32_e32 v18, s14, v18
	v_and_b32_e32 v19, s15, v19
	s_delay_alu instid0(VALU_DEP_1) | instskip(SKIP_1) | instid1(VALU_DEP_1)
	v_mul_u64_e32 v[6:7], 24, v[18:19]
	s_wait_loadcnt 0x0
	v_add_nc_u64_e32 v[6:7], v[20:21], v[6:7]
	s_wait_xcnt 0x0
	s_and_saveexec_b32 s16, s2
	s_cbranch_execz .LBB3_571
; %bb.570:                              ;   in Loop: Header=BB3_5 Depth=1
	v_mov_b32_e32 v0, s3
	global_store_b128 v[6:7], v[0:3], off offset:8
.LBB3_571:                              ;   in Loop: Header=BB3_5 Depth=1
	s_wait_xcnt 0x0
	s_or_b32 exec_lo, exec_lo, s16
	v_lshlrev_b64_e32 v[18:19], 12, v[18:19]
	s_mul_i32 s3, s27, 10
	v_mov_b64_e32 v[26:27], s[6:7]
	v_mov_b64_e32 v[24:25], s[4:5]
	v_and_or_b32 v16, 0xffffff1d, v16, 34
	s_delay_alu instid0(VALU_DEP_4) | instskip(SKIP_1) | instid1(VALU_DEP_2)
	v_add_nc_u64_e32 v[22:23], v[22:23], v[18:19]
	v_dual_mov_b32 v19, v1 :: v_dual_mov_b32 v18, s3
	v_readfirstlane_b32 s16, v22
	s_delay_alu instid0(VALU_DEP_3)
	v_readfirstlane_b32 s17, v23
	s_clause 0x3
	global_store_b128 v42, v[16:19], s[16:17]
	global_store_b128 v42, v[24:27], s[16:17] offset:16
	global_store_b128 v42, v[24:27], s[16:17] offset:32
	global_store_b128 v42, v[24:27], s[16:17] offset:48
	s_wait_xcnt 0x0
	s_and_saveexec_b32 s3, s2
	s_cbranch_execz .LBB3_579
; %bb.572:                              ;   in Loop: Header=BB3_5 Depth=1
	s_clause 0x1
	global_load_b64 v[26:27], v1, s[10:11] offset:32 scope:SCOPE_SYS
	global_load_b64 v[16:17], v1, s[10:11] offset:40
	s_mov_b32 s16, exec_lo
	v_dual_mov_b32 v24, s14 :: v_dual_mov_b32 v25, s15
	s_wait_loadcnt 0x0
	v_and_b32_e32 v17, s15, v17
	v_and_b32_e32 v16, s14, v16
	s_delay_alu instid0(VALU_DEP_1) | instskip(NEXT) | instid1(VALU_DEP_1)
	v_mul_u64_e32 v[16:17], 24, v[16:17]
	v_add_nc_u64_e32 v[20:21], v[20:21], v[16:17]
	global_store_b64 v[20:21], v[26:27], off
	global_wb scope:SCOPE_SYS
	s_wait_storecnt 0x0
	s_wait_xcnt 0x0
	global_atomic_cmpswap_b64 v[18:19], v1, v[24:27], s[10:11] offset:32 th:TH_ATOMIC_RETURN scope:SCOPE_SYS
	s_wait_loadcnt 0x0
	s_wait_xcnt 0x0
	v_cmpx_ne_u64_e64 v[18:19], v[26:27]
	s_cbranch_execz .LBB3_575
; %bb.573:                              ;   in Loop: Header=BB3_5 Depth=1
	s_mov_b32 s17, 0
.LBB3_574:                              ;   Parent Loop BB3_5 Depth=1
                                        ; =>  This Inner Loop Header: Depth=2
	v_dual_mov_b32 v16, s14 :: v_dual_mov_b32 v17, s15
	s_sleep 1
	global_store_b64 v[20:21], v[18:19], off
	global_wb scope:SCOPE_SYS
	s_wait_storecnt 0x0
	s_wait_xcnt 0x0
	global_atomic_cmpswap_b64 v[16:17], v1, v[16:19], s[10:11] offset:32 th:TH_ATOMIC_RETURN scope:SCOPE_SYS
	s_wait_loadcnt 0x0
	v_cmp_eq_u64_e32 vcc_lo, v[16:17], v[18:19]
	s_wait_xcnt 0x0
	v_mov_b64_e32 v[18:19], v[16:17]
	s_or_b32 s17, vcc_lo, s17
	s_delay_alu instid0(SALU_CYCLE_1)
	s_and_not1_b32 exec_lo, exec_lo, s17
	s_cbranch_execnz .LBB3_574
.LBB3_575:                              ;   in Loop: Header=BB3_5 Depth=1
	s_or_b32 exec_lo, exec_lo, s16
	global_load_b64 v[16:17], v1, s[10:11] offset:16
	s_mov_b32 s17, exec_lo
	s_mov_b32 s16, exec_lo
	v_mbcnt_lo_u32_b32 v0, s17, 0
	s_wait_xcnt 0x0
	s_delay_alu instid0(VALU_DEP_1)
	v_cmpx_eq_u32_e32 0, v0
	s_cbranch_execz .LBB3_577
; %bb.576:                              ;   in Loop: Header=BB3_5 Depth=1
	s_bcnt1_i32_b32 s17, s17
	s_delay_alu instid0(SALU_CYCLE_1)
	v_mov_b32_e32 v0, s17
	global_wb scope:SCOPE_SYS
	s_wait_loadcnt 0x0
	s_wait_storecnt 0x0
	global_atomic_add_u64 v[16:17], v[0:1], off offset:8 scope:SCOPE_SYS
.LBB3_577:                              ;   in Loop: Header=BB3_5 Depth=1
	s_wait_xcnt 0x0
	s_or_b32 exec_lo, exec_lo, s16
	s_wait_loadcnt 0x0
	global_load_b64 v[18:19], v[16:17], off offset:16
	s_wait_loadcnt 0x0
	v_cmp_eq_u64_e32 vcc_lo, 0, v[18:19]
	s_cbranch_vccnz .LBB3_579
; %bb.578:                              ;   in Loop: Header=BB3_5 Depth=1
	global_load_b32 v0, v[16:17], off offset:24
	s_wait_loadcnt 0x0
	v_readfirstlane_b32 s16, v0
	global_wb scope:SCOPE_SYS
	s_wait_storecnt 0x0
	s_wait_xcnt 0x0
	global_store_b64 v[18:19], v[0:1], off scope:SCOPE_SYS
	s_and_b32 m0, s16, 0xffffff
	s_sendmsg sendmsg(MSG_INTERRUPT)
.LBB3_579:                              ;   in Loop: Header=BB3_5 Depth=1
	s_wait_xcnt 0x0
	s_or_b32 exec_lo, exec_lo, s3
	v_mov_b32_e32 v43, v1
	s_delay_alu instid0(VALU_DEP_1)
	v_add_nc_u64_e32 v[16:17], v[22:23], v[42:43]
	s_branch .LBB3_583
.LBB3_580:                              ;   in Loop: Header=BB3_583 Depth=2
	s_wait_xcnt 0x0
	s_or_b32 exec_lo, exec_lo, s3
	s_delay_alu instid0(VALU_DEP_1)
	v_readfirstlane_b32 s3, v0
	s_cmp_eq_u32 s3, 0
	s_cbranch_scc1 .LBB3_582
; %bb.581:                              ;   in Loop: Header=BB3_583 Depth=2
	s_sleep 1
	s_cbranch_execnz .LBB3_583
	s_branch .LBB3_585
.LBB3_582:                              ;   in Loop: Header=BB3_5 Depth=1
	s_branch .LBB3_585
.LBB3_583:                              ;   Parent Loop BB3_5 Depth=1
                                        ; =>  This Inner Loop Header: Depth=2
	v_mov_b32_e32 v0, 1
	s_and_saveexec_b32 s3, s2
	s_cbranch_execz .LBB3_580
; %bb.584:                              ;   in Loop: Header=BB3_583 Depth=2
	global_load_b32 v0, v[6:7], off offset:20 scope:SCOPE_SYS
	s_wait_loadcnt 0x0
	global_inv scope:SCOPE_SYS
	v_and_b32_e32 v0, 1, v0
	s_branch .LBB3_580
.LBB3_585:                              ;   in Loop: Header=BB3_5 Depth=1
	global_load_b64 v[48:49], v[16:17], off
	s_wait_xcnt 0x0
	s_and_saveexec_b32 s16, s2
	s_cbranch_execz .LBB3_589
; %bb.586:                              ;   in Loop: Header=BB3_5 Depth=1
	s_clause 0x2
	global_load_b64 v[6:7], v1, s[10:11] offset:40
	global_load_b64 v[20:21], v1, s[10:11] offset:24 scope:SCOPE_SYS
	global_load_b64 v[16:17], v1, s[10:11]
	s_wait_loadcnt 0x2
	v_readfirstlane_b32 s18, v6
	v_readfirstlane_b32 s19, v7
	s_add_nc_u64 s[2:3], s[18:19], 1
	s_delay_alu instid0(SALU_CYCLE_1) | instskip(NEXT) | instid1(SALU_CYCLE_1)
	s_add_nc_u64 s[14:15], s[2:3], s[14:15]
	s_cmp_eq_u64 s[14:15], 0
	s_cselect_b32 s3, s3, s15
	s_cselect_b32 s2, s2, s14
	s_delay_alu instid0(SALU_CYCLE_1) | instskip(SKIP_1) | instid1(SALU_CYCLE_1)
	v_dual_mov_b32 v19, s3 :: v_dual_mov_b32 v18, s2
	s_and_b64 s[14:15], s[2:3], s[18:19]
	s_mul_u64 s[14:15], s[14:15], 24
	s_wait_loadcnt 0x0
	v_add_nc_u64_e32 v[6:7], s[14:15], v[16:17]
	global_store_b64 v[6:7], v[20:21], off
	global_wb scope:SCOPE_SYS
	s_wait_storecnt 0x0
	s_wait_xcnt 0x0
	global_atomic_cmpswap_b64 v[18:19], v1, v[18:21], s[10:11] offset:24 th:TH_ATOMIC_RETURN scope:SCOPE_SYS
	s_wait_loadcnt 0x0
	v_cmp_ne_u64_e32 vcc_lo, v[18:19], v[20:21]
	s_wait_xcnt 0x0
	s_and_b32 exec_lo, exec_lo, vcc_lo
	s_cbranch_execz .LBB3_589
; %bb.587:                              ;   in Loop: Header=BB3_5 Depth=1
	s_mov_b32 s14, 0
.LBB3_588:                              ;   Parent Loop BB3_5 Depth=1
                                        ; =>  This Inner Loop Header: Depth=2
	v_dual_mov_b32 v16, s2 :: v_dual_mov_b32 v17, s3
	s_sleep 1
	global_store_b64 v[6:7], v[18:19], off
	global_wb scope:SCOPE_SYS
	s_wait_storecnt 0x0
	s_wait_xcnt 0x0
	global_atomic_cmpswap_b64 v[16:17], v1, v[16:19], s[10:11] offset:24 th:TH_ATOMIC_RETURN scope:SCOPE_SYS
	s_wait_loadcnt 0x0
	v_cmp_eq_u64_e32 vcc_lo, v[16:17], v[18:19]
	s_wait_xcnt 0x0
	v_mov_b64_e32 v[18:19], v[16:17]
	s_or_b32 s14, vcc_lo, s14
	s_delay_alu instid0(SALU_CYCLE_1)
	s_and_not1_b32 exec_lo, exec_lo, s14
	s_cbranch_execnz .LBB3_588
.LBB3_589:                              ;   in Loop: Header=BB3_5 Depth=1
	s_or_b32 exec_lo, exec_lo, s16
	v_readfirstlane_b32 s2, v40
	v_mov_b64_e32 v[6:7], 0
	s_delay_alu instid0(VALU_DEP_2)
	v_cmp_eq_u32_e64 s2, s2, v40
	s_and_saveexec_b32 s3, s2
	s_cbranch_execz .LBB3_595
; %bb.590:                              ;   in Loop: Header=BB3_5 Depth=1
	global_load_b64 v[18:19], v1, s[10:11] offset:24 scope:SCOPE_SYS
	s_wait_loadcnt 0x0
	global_inv scope:SCOPE_SYS
	s_clause 0x1
	global_load_b64 v[6:7], v1, s[10:11] offset:40
	global_load_b64 v[16:17], v1, s[10:11]
	s_mov_b32 s14, exec_lo
	s_wait_loadcnt 0x1
	v_and_b32_e32 v6, v6, v18
	v_and_b32_e32 v7, v7, v19
	s_delay_alu instid0(VALU_DEP_1) | instskip(SKIP_1) | instid1(VALU_DEP_1)
	v_mul_u64_e32 v[6:7], 24, v[6:7]
	s_wait_loadcnt 0x0
	v_add_nc_u64_e32 v[6:7], v[16:17], v[6:7]
	global_load_b64 v[16:17], v[6:7], off scope:SCOPE_SYS
	s_wait_xcnt 0x0
	s_wait_loadcnt 0x0
	global_atomic_cmpswap_b64 v[6:7], v1, v[16:19], s[10:11] offset:24 th:TH_ATOMIC_RETURN scope:SCOPE_SYS
	s_wait_loadcnt 0x0
	global_inv scope:SCOPE_SYS
	s_wait_xcnt 0x0
	v_cmpx_ne_u64_e64 v[6:7], v[18:19]
	s_cbranch_execz .LBB3_594
; %bb.591:                              ;   in Loop: Header=BB3_5 Depth=1
	s_mov_b32 s15, 0
.LBB3_592:                              ;   Parent Loop BB3_5 Depth=1
                                        ; =>  This Inner Loop Header: Depth=2
	s_sleep 1
	s_clause 0x1
	global_load_b64 v[16:17], v1, s[10:11] offset:40
	global_load_b64 v[20:21], v1, s[10:11]
	v_mov_b64_e32 v[18:19], v[6:7]
	s_wait_loadcnt 0x1
	s_delay_alu instid0(VALU_DEP_1) | instskip(SKIP_1) | instid1(VALU_DEP_1)
	v_and_b32_e32 v0, v16, v18
	s_wait_loadcnt 0x0
	v_mad_nc_u64_u32 v[6:7], v0, 24, v[20:21]
	s_delay_alu instid0(VALU_DEP_3) | instskip(NEXT) | instid1(VALU_DEP_1)
	v_and_b32_e32 v0, v17, v19
	v_mad_u32 v7, v0, 24, v7
	global_load_b64 v[16:17], v[6:7], off scope:SCOPE_SYS
	s_wait_xcnt 0x0
	s_wait_loadcnt 0x0
	global_atomic_cmpswap_b64 v[6:7], v1, v[16:19], s[10:11] offset:24 th:TH_ATOMIC_RETURN scope:SCOPE_SYS
	s_wait_loadcnt 0x0
	global_inv scope:SCOPE_SYS
	v_cmp_eq_u64_e32 vcc_lo, v[6:7], v[18:19]
	s_or_b32 s15, vcc_lo, s15
	s_wait_xcnt 0x0
	s_and_not1_b32 exec_lo, exec_lo, s15
	s_cbranch_execnz .LBB3_592
; %bb.593:                              ;   in Loop: Header=BB3_5 Depth=1
	s_or_b32 exec_lo, exec_lo, s15
.LBB3_594:                              ;   in Loop: Header=BB3_5 Depth=1
	s_delay_alu instid0(SALU_CYCLE_1)
	s_or_b32 exec_lo, exec_lo, s14
.LBB3_595:                              ;   in Loop: Header=BB3_5 Depth=1
	s_delay_alu instid0(SALU_CYCLE_1)
	s_or_b32 exec_lo, exec_lo, s3
	s_clause 0x1
	global_load_b64 v[20:21], v1, s[10:11] offset:40
	global_load_b128 v[16:19], v1, s[10:11]
	v_readfirstlane_b32 s14, v6
	v_readfirstlane_b32 s15, v7
	s_mov_b32 s3, exec_lo
	s_wait_loadcnt 0x1
	v_and_b32_e32 v6, s14, v20
	v_and_b32_e32 v7, s15, v21
	s_delay_alu instid0(VALU_DEP_1) | instskip(SKIP_1) | instid1(VALU_DEP_1)
	v_mul_u64_e32 v[20:21], 24, v[6:7]
	s_wait_loadcnt 0x0
	v_add_nc_u64_e32 v[20:21], v[16:17], v[20:21]
	s_wait_xcnt 0x0
	s_and_saveexec_b32 s16, s2
	s_cbranch_execz .LBB3_597
; %bb.596:                              ;   in Loop: Header=BB3_5 Depth=1
	v_mov_b32_e32 v0, s3
	global_store_b128 v[20:21], v[0:3], off offset:8
.LBB3_597:                              ;   in Loop: Header=BB3_5 Depth=1
	s_wait_xcnt 0x0
	s_or_b32 exec_lo, exec_lo, s16
	v_lshlrev_b64_e32 v[6:7], 12, v[6:7]
	v_mov_b64_e32 v[26:27], s[6:7]
	v_mov_b64_e32 v[24:25], s[4:5]
	v_mov_b32_e32 v5, v1
	s_delay_alu instid0(VALU_DEP_4) | instskip(SKIP_1) | instid1(VALU_DEP_2)
	v_add_nc_u64_e32 v[22:23], v[18:19], v[6:7]
	v_dual_mov_b32 v6, v1 :: v_dual_mov_b32 v7, v1
	v_readfirstlane_b32 s16, v22
	s_delay_alu instid0(VALU_DEP_3)
	v_readfirstlane_b32 s17, v23
	s_clause 0x3
	global_store_b128 v42, v[4:7], s[16:17]
	global_store_b128 v42, v[24:27], s[16:17] offset:16
	global_store_b128 v42, v[24:27], s[16:17] offset:32
	;; [unrolled: 1-line block ×3, first 2 shown]
	s_wait_xcnt 0x0
	s_and_saveexec_b32 s3, s2
	s_cbranch_execz .LBB3_605
; %bb.598:                              ;   in Loop: Header=BB3_5 Depth=1
	s_clause 0x1
	global_load_b64 v[26:27], v1, s[10:11] offset:32 scope:SCOPE_SYS
	global_load_b64 v[6:7], v1, s[10:11] offset:40
	s_mov_b32 s16, exec_lo
	v_dual_mov_b32 v24, s14 :: v_dual_mov_b32 v25, s15
	s_wait_loadcnt 0x0
	v_and_b32_e32 v7, s15, v7
	v_and_b32_e32 v6, s14, v6
	s_delay_alu instid0(VALU_DEP_1) | instskip(NEXT) | instid1(VALU_DEP_1)
	v_mul_u64_e32 v[6:7], 24, v[6:7]
	v_add_nc_u64_e32 v[6:7], v[16:17], v[6:7]
	global_store_b64 v[6:7], v[26:27], off
	global_wb scope:SCOPE_SYS
	s_wait_storecnt 0x0
	s_wait_xcnt 0x0
	global_atomic_cmpswap_b64 v[18:19], v1, v[24:27], s[10:11] offset:32 th:TH_ATOMIC_RETURN scope:SCOPE_SYS
	s_wait_loadcnt 0x0
	s_wait_xcnt 0x0
	v_cmpx_ne_u64_e64 v[18:19], v[26:27]
	s_cbranch_execz .LBB3_601
; %bb.599:                              ;   in Loop: Header=BB3_5 Depth=1
	s_mov_b32 s17, 0
.LBB3_600:                              ;   Parent Loop BB3_5 Depth=1
                                        ; =>  This Inner Loop Header: Depth=2
	v_dual_mov_b32 v16, s14 :: v_dual_mov_b32 v17, s15
	s_sleep 1
	global_store_b64 v[6:7], v[18:19], off
	global_wb scope:SCOPE_SYS
	s_wait_storecnt 0x0
	s_wait_xcnt 0x0
	global_atomic_cmpswap_b64 v[16:17], v1, v[16:19], s[10:11] offset:32 th:TH_ATOMIC_RETURN scope:SCOPE_SYS
	s_wait_loadcnt 0x0
	v_cmp_eq_u64_e32 vcc_lo, v[16:17], v[18:19]
	s_wait_xcnt 0x0
	v_mov_b64_e32 v[18:19], v[16:17]
	s_or_b32 s17, vcc_lo, s17
	s_delay_alu instid0(SALU_CYCLE_1)
	s_and_not1_b32 exec_lo, exec_lo, s17
	s_cbranch_execnz .LBB3_600
.LBB3_601:                              ;   in Loop: Header=BB3_5 Depth=1
	s_or_b32 exec_lo, exec_lo, s16
	global_load_b64 v[6:7], v1, s[10:11] offset:16
	s_mov_b32 s17, exec_lo
	s_mov_b32 s16, exec_lo
	v_mbcnt_lo_u32_b32 v0, s17, 0
	s_wait_xcnt 0x0
	s_delay_alu instid0(VALU_DEP_1)
	v_cmpx_eq_u32_e32 0, v0
	s_cbranch_execz .LBB3_603
; %bb.602:                              ;   in Loop: Header=BB3_5 Depth=1
	s_bcnt1_i32_b32 s17, s17
	s_delay_alu instid0(SALU_CYCLE_1)
	v_mov_b32_e32 v0, s17
	global_wb scope:SCOPE_SYS
	s_wait_loadcnt 0x0
	s_wait_storecnt 0x0
	global_atomic_add_u64 v[6:7], v[0:1], off offset:8 scope:SCOPE_SYS
.LBB3_603:                              ;   in Loop: Header=BB3_5 Depth=1
	s_wait_xcnt 0x0
	s_or_b32 exec_lo, exec_lo, s16
	s_wait_loadcnt 0x0
	global_load_b64 v[16:17], v[6:7], off offset:16
	s_wait_loadcnt 0x0
	v_cmp_eq_u64_e32 vcc_lo, 0, v[16:17]
	s_cbranch_vccnz .LBB3_605
; %bb.604:                              ;   in Loop: Header=BB3_5 Depth=1
	global_load_b32 v0, v[6:7], off offset:24
	s_wait_loadcnt 0x0
	v_readfirstlane_b32 s16, v0
	global_wb scope:SCOPE_SYS
	s_wait_storecnt 0x0
	s_wait_xcnt 0x0
	global_store_b64 v[16:17], v[0:1], off scope:SCOPE_SYS
	s_and_b32 m0, s16, 0xffffff
	s_sendmsg sendmsg(MSG_INTERRUPT)
.LBB3_605:                              ;   in Loop: Header=BB3_5 Depth=1
	s_wait_xcnt 0x0
	s_or_b32 exec_lo, exec_lo, s3
	v_mov_b32_e32 v43, v1
	s_delay_alu instid0(VALU_DEP_1)
	v_add_nc_u64_e32 v[6:7], v[22:23], v[42:43]
	s_branch .LBB3_609
.LBB3_606:                              ;   in Loop: Header=BB3_609 Depth=2
	s_wait_xcnt 0x0
	s_or_b32 exec_lo, exec_lo, s3
	s_delay_alu instid0(VALU_DEP_1)
	v_readfirstlane_b32 s3, v0
	s_cmp_eq_u32 s3, 0
	s_cbranch_scc1 .LBB3_608
; %bb.607:                              ;   in Loop: Header=BB3_609 Depth=2
	s_sleep 1
	s_cbranch_execnz .LBB3_609
	s_branch .LBB3_611
.LBB3_608:                              ;   in Loop: Header=BB3_5 Depth=1
	s_branch .LBB3_611
.LBB3_609:                              ;   Parent Loop BB3_5 Depth=1
                                        ; =>  This Inner Loop Header: Depth=2
	v_mov_b32_e32 v0, 1
	s_and_saveexec_b32 s3, s2
	s_cbranch_execz .LBB3_606
; %bb.610:                              ;   in Loop: Header=BB3_609 Depth=2
	global_load_b32 v0, v[20:21], off offset:20 scope:SCOPE_SYS
	s_wait_loadcnt 0x0
	global_inv scope:SCOPE_SYS
	v_and_b32_e32 v0, 1, v0
	s_branch .LBB3_606
.LBB3_611:                              ;   in Loop: Header=BB3_5 Depth=1
	global_load_b64 v[20:21], v[6:7], off
	s_wait_xcnt 0x0
	s_and_saveexec_b32 s16, s2
	s_cbranch_execz .LBB3_615
; %bb.612:                              ;   in Loop: Header=BB3_5 Depth=1
	s_clause 0x2
	global_load_b64 v[6:7], v1, s[10:11] offset:40
	global_load_b64 v[24:25], v1, s[10:11] offset:24 scope:SCOPE_SYS
	global_load_b64 v[16:17], v1, s[10:11]
	s_wait_loadcnt 0x2
	v_readfirstlane_b32 s18, v6
	v_readfirstlane_b32 s19, v7
	s_add_nc_u64 s[2:3], s[18:19], 1
	s_delay_alu instid0(SALU_CYCLE_1) | instskip(NEXT) | instid1(SALU_CYCLE_1)
	s_add_nc_u64 s[14:15], s[2:3], s[14:15]
	s_cmp_eq_u64 s[14:15], 0
	s_cselect_b32 s3, s3, s15
	s_cselect_b32 s2, s2, s14
	s_delay_alu instid0(SALU_CYCLE_1) | instskip(SKIP_1) | instid1(SALU_CYCLE_1)
	v_dual_mov_b32 v23, s3 :: v_dual_mov_b32 v22, s2
	s_and_b64 s[14:15], s[2:3], s[18:19]
	s_mul_u64 s[14:15], s[14:15], 24
	s_wait_loadcnt 0x0
	v_add_nc_u64_e32 v[6:7], s[14:15], v[16:17]
	global_store_b64 v[6:7], v[24:25], off
	global_wb scope:SCOPE_SYS
	s_wait_storecnt 0x0
	s_wait_xcnt 0x0
	global_atomic_cmpswap_b64 v[18:19], v1, v[22:25], s[10:11] offset:24 th:TH_ATOMIC_RETURN scope:SCOPE_SYS
	s_wait_loadcnt 0x0
	v_cmp_ne_u64_e32 vcc_lo, v[18:19], v[24:25]
	s_wait_xcnt 0x0
	s_and_b32 exec_lo, exec_lo, vcc_lo
	s_cbranch_execz .LBB3_615
; %bb.613:                              ;   in Loop: Header=BB3_5 Depth=1
	s_mov_b32 s14, 0
.LBB3_614:                              ;   Parent Loop BB3_5 Depth=1
                                        ; =>  This Inner Loop Header: Depth=2
	v_dual_mov_b32 v16, s2 :: v_dual_mov_b32 v17, s3
	s_sleep 1
	global_store_b64 v[6:7], v[18:19], off
	global_wb scope:SCOPE_SYS
	s_wait_storecnt 0x0
	s_wait_xcnt 0x0
	global_atomic_cmpswap_b64 v[16:17], v1, v[16:19], s[10:11] offset:24 th:TH_ATOMIC_RETURN scope:SCOPE_SYS
	s_wait_loadcnt 0x0
	v_cmp_eq_u64_e32 vcc_lo, v[16:17], v[18:19]
	s_wait_xcnt 0x0
	v_mov_b64_e32 v[18:19], v[16:17]
	s_or_b32 s14, vcc_lo, s14
	s_delay_alu instid0(SALU_CYCLE_1)
	s_and_not1_b32 exec_lo, exec_lo, s14
	s_cbranch_execnz .LBB3_614
.LBB3_615:                              ;   in Loop: Header=BB3_5 Depth=1
	s_or_b32 exec_lo, exec_lo, s16
	s_delay_alu instid0(SALU_CYCLE_1)
	s_and_b32 vcc_lo, exec_lo, s25
	s_cbranch_vccz .LBB3_773
; %bb.616:                              ;   in Loop: Header=BB3_5 Depth=1
	s_wait_loadcnt 0x0
	v_dual_mov_b32 v17, v21 :: v_dual_bitop2_b32 v6, 2, v20 bitop3:0x40
	v_and_b32_e32 v16, -3, v20
	s_mov_b64 s[16:17], 9
	s_get_pc_i64 s[14:15]
	s_add_nc_u64 s[14:15], s[14:15], .str.5@rel64+4
	s_branch .LBB3_618
.LBB3_617:                              ;   in Loop: Header=BB3_618 Depth=2
	s_or_b32 exec_lo, exec_lo, s22
	s_sub_nc_u64 s[16:17], s[16:17], s[18:19]
	s_add_nc_u64 s[14:15], s[14:15], s[18:19]
	s_cmp_lg_u64 s[16:17], 0
	s_cbranch_scc0 .LBB3_693
.LBB3_618:                              ;   Parent Loop BB3_5 Depth=1
                                        ; =>  This Loop Header: Depth=2
                                        ;       Child Loop BB3_621 Depth 3
                                        ;       Child Loop BB3_628 Depth 3
	;; [unrolled: 1-line block ×11, first 2 shown]
	v_min_u64 v[18:19], s[16:17], 56
	v_cmp_gt_u64_e64 s2, s[16:17], 7
	s_and_b32 vcc_lo, exec_lo, s2
	v_readfirstlane_b32 s18, v18
	v_readfirstlane_b32 s19, v19
	s_cbranch_vccnz .LBB3_623
; %bb.619:                              ;   in Loop: Header=BB3_618 Depth=2
	v_mov_b64_e32 v[18:19], 0
	s_cmp_eq_u64 s[16:17], 0
	s_cbranch_scc1 .LBB3_622
; %bb.620:                              ;   in Loop: Header=BB3_618 Depth=2
	s_mov_b64 s[2:3], 0
	s_mov_b64 s[20:21], 0
.LBB3_621:                              ;   Parent Loop BB3_5 Depth=1
                                        ;     Parent Loop BB3_618 Depth=2
                                        ; =>    This Inner Loop Header: Depth=3
	s_wait_xcnt 0x0
	s_add_nc_u64 s[22:23], s[14:15], s[20:21]
	s_add_nc_u64 s[20:21], s[20:21], 1
	global_load_u8 v0, v1, s[22:23]
	s_cmp_lg_u32 s18, s20
	s_wait_loadcnt 0x0
	v_and_b32_e32 v0, 0xffff, v0
	s_delay_alu instid0(VALU_DEP_1) | instskip(SKIP_1) | instid1(VALU_DEP_1)
	v_lshlrev_b64_e32 v[22:23], s2, v[0:1]
	s_add_nc_u64 s[2:3], s[2:3], 8
	v_or_b32_e32 v18, v22, v18
	s_delay_alu instid0(VALU_DEP_2)
	v_or_b32_e32 v19, v23, v19
	s_cbranch_scc1 .LBB3_621
.LBB3_622:                              ;   in Loop: Header=BB3_618 Depth=2
	s_mov_b64 s[2:3], s[14:15]
	s_mov_b32 s28, 0
	s_cbranch_execz .LBB3_624
	s_branch .LBB3_625
.LBB3_623:                              ;   in Loop: Header=BB3_618 Depth=2
	s_add_nc_u64 s[2:3], s[14:15], 8
	s_mov_b32 s28, 0
.LBB3_624:                              ;   in Loop: Header=BB3_618 Depth=2
	global_load_b64 v[18:19], v1, s[14:15]
	s_add_co_i32 s28, s18, -8
.LBB3_625:                              ;   in Loop: Header=BB3_618 Depth=2
	s_delay_alu instid0(SALU_CYCLE_1)
	s_cmp_gt_u32 s28, 7
	s_cbranch_scc1 .LBB3_630
; %bb.626:                              ;   in Loop: Header=BB3_618 Depth=2
	v_mov_b64_e32 v[22:23], 0
	s_cmp_eq_u32 s28, 0
	s_cbranch_scc1 .LBB3_629
; %bb.627:                              ;   in Loop: Header=BB3_618 Depth=2
	s_mov_b64 s[20:21], 0
	s_wait_xcnt 0x0
	s_mov_b64 s[22:23], 0
.LBB3_628:                              ;   Parent Loop BB3_5 Depth=1
                                        ;     Parent Loop BB3_618 Depth=2
                                        ; =>    This Inner Loop Header: Depth=3
	s_wait_xcnt 0x0
	s_add_nc_u64 s[30:31], s[2:3], s[22:23]
	s_add_nc_u64 s[22:23], s[22:23], 1
	global_load_u8 v0, v1, s[30:31]
	s_cmp_lg_u32 s28, s22
	s_wait_loadcnt 0x0
	v_and_b32_e32 v0, 0xffff, v0
	s_delay_alu instid0(VALU_DEP_1) | instskip(SKIP_1) | instid1(VALU_DEP_1)
	v_lshlrev_b64_e32 v[24:25], s20, v[0:1]
	s_add_nc_u64 s[20:21], s[20:21], 8
	v_or_b32_e32 v22, v24, v22
	s_delay_alu instid0(VALU_DEP_2)
	v_or_b32_e32 v23, v25, v23
	s_cbranch_scc1 .LBB3_628
.LBB3_629:                              ;   in Loop: Header=BB3_618 Depth=2
	s_wait_xcnt 0x0
	s_mov_b64 s[20:21], s[2:3]
	s_mov_b32 s29, 0
	s_cbranch_execz .LBB3_631
	s_branch .LBB3_632
.LBB3_630:                              ;   in Loop: Header=BB3_618 Depth=2
	s_add_nc_u64 s[20:21], s[2:3], 8
	s_wait_xcnt 0x0
                                        ; implicit-def: $vgpr22_vgpr23
	s_mov_b32 s29, 0
.LBB3_631:                              ;   in Loop: Header=BB3_618 Depth=2
	global_load_b64 v[22:23], v1, s[2:3]
	s_add_co_i32 s29, s28, -8
.LBB3_632:                              ;   in Loop: Header=BB3_618 Depth=2
	s_delay_alu instid0(SALU_CYCLE_1)
	s_cmp_gt_u32 s29, 7
	s_cbranch_scc1 .LBB3_637
; %bb.633:                              ;   in Loop: Header=BB3_618 Depth=2
	v_mov_b64_e32 v[24:25], 0
	s_cmp_eq_u32 s29, 0
	s_cbranch_scc1 .LBB3_636
; %bb.634:                              ;   in Loop: Header=BB3_618 Depth=2
	s_wait_xcnt 0x0
	s_mov_b64 s[2:3], 0
	s_mov_b64 s[22:23], 0
.LBB3_635:                              ;   Parent Loop BB3_5 Depth=1
                                        ;     Parent Loop BB3_618 Depth=2
                                        ; =>    This Inner Loop Header: Depth=3
	s_wait_xcnt 0x0
	s_add_nc_u64 s[30:31], s[20:21], s[22:23]
	s_add_nc_u64 s[22:23], s[22:23], 1
	global_load_u8 v0, v1, s[30:31]
	s_cmp_lg_u32 s29, s22
	s_wait_loadcnt 0x0
	v_and_b32_e32 v0, 0xffff, v0
	s_delay_alu instid0(VALU_DEP_1) | instskip(SKIP_1) | instid1(VALU_DEP_1)
	v_lshlrev_b64_e32 v[26:27], s2, v[0:1]
	s_add_nc_u64 s[2:3], s[2:3], 8
	v_or_b32_e32 v24, v26, v24
	s_delay_alu instid0(VALU_DEP_2)
	v_or_b32_e32 v25, v27, v25
	s_cbranch_scc1 .LBB3_635
.LBB3_636:                              ;   in Loop: Header=BB3_618 Depth=2
	s_wait_xcnt 0x0
	s_mov_b64 s[2:3], s[20:21]
	s_mov_b32 s28, 0
	s_cbranch_execz .LBB3_638
	s_branch .LBB3_639
.LBB3_637:                              ;   in Loop: Header=BB3_618 Depth=2
	s_wait_xcnt 0x0
	s_add_nc_u64 s[2:3], s[20:21], 8
	s_mov_b32 s28, 0
.LBB3_638:                              ;   in Loop: Header=BB3_618 Depth=2
	global_load_b64 v[24:25], v1, s[20:21]
	s_add_co_i32 s28, s29, -8
.LBB3_639:                              ;   in Loop: Header=BB3_618 Depth=2
	s_delay_alu instid0(SALU_CYCLE_1)
	s_cmp_gt_u32 s28, 7
	s_cbranch_scc1 .LBB3_644
; %bb.640:                              ;   in Loop: Header=BB3_618 Depth=2
	v_mov_b64_e32 v[26:27], 0
	s_cmp_eq_u32 s28, 0
	s_cbranch_scc1 .LBB3_643
; %bb.641:                              ;   in Loop: Header=BB3_618 Depth=2
	s_wait_xcnt 0x0
	s_mov_b64 s[20:21], 0
	s_mov_b64 s[22:23], 0
.LBB3_642:                              ;   Parent Loop BB3_5 Depth=1
                                        ;     Parent Loop BB3_618 Depth=2
                                        ; =>    This Inner Loop Header: Depth=3
	s_wait_xcnt 0x0
	s_add_nc_u64 s[30:31], s[2:3], s[22:23]
	s_add_nc_u64 s[22:23], s[22:23], 1
	global_load_u8 v0, v1, s[30:31]
	s_cmp_lg_u32 s28, s22
	s_wait_loadcnt 0x0
	v_and_b32_e32 v0, 0xffff, v0
	s_delay_alu instid0(VALU_DEP_1) | instskip(SKIP_1) | instid1(VALU_DEP_1)
	v_lshlrev_b64_e32 v[28:29], s20, v[0:1]
	s_add_nc_u64 s[20:21], s[20:21], 8
	v_or_b32_e32 v26, v28, v26
	s_delay_alu instid0(VALU_DEP_2)
	v_or_b32_e32 v27, v29, v27
	s_cbranch_scc1 .LBB3_642
.LBB3_643:                              ;   in Loop: Header=BB3_618 Depth=2
	s_wait_xcnt 0x0
	s_mov_b64 s[20:21], s[2:3]
	s_mov_b32 s29, 0
	s_cbranch_execz .LBB3_645
	s_branch .LBB3_646
.LBB3_644:                              ;   in Loop: Header=BB3_618 Depth=2
	s_wait_xcnt 0x0
	s_add_nc_u64 s[20:21], s[2:3], 8
                                        ; implicit-def: $vgpr26_vgpr27
	s_mov_b32 s29, 0
.LBB3_645:                              ;   in Loop: Header=BB3_618 Depth=2
	global_load_b64 v[26:27], v1, s[2:3]
	s_add_co_i32 s29, s28, -8
.LBB3_646:                              ;   in Loop: Header=BB3_618 Depth=2
	s_delay_alu instid0(SALU_CYCLE_1)
	s_cmp_gt_u32 s29, 7
	s_cbranch_scc1 .LBB3_651
; %bb.647:                              ;   in Loop: Header=BB3_618 Depth=2
	v_mov_b64_e32 v[28:29], 0
	s_cmp_eq_u32 s29, 0
	s_cbranch_scc1 .LBB3_650
; %bb.648:                              ;   in Loop: Header=BB3_618 Depth=2
	s_wait_xcnt 0x0
	s_mov_b64 s[2:3], 0
	s_mov_b64 s[22:23], 0
.LBB3_649:                              ;   Parent Loop BB3_5 Depth=1
                                        ;     Parent Loop BB3_618 Depth=2
                                        ; =>    This Inner Loop Header: Depth=3
	s_wait_xcnt 0x0
	s_add_nc_u64 s[30:31], s[20:21], s[22:23]
	s_add_nc_u64 s[22:23], s[22:23], 1
	global_load_u8 v0, v1, s[30:31]
	s_cmp_lg_u32 s29, s22
	s_wait_loadcnt 0x0
	v_and_b32_e32 v0, 0xffff, v0
	s_delay_alu instid0(VALU_DEP_1) | instskip(SKIP_1) | instid1(VALU_DEP_1)
	v_lshlrev_b64_e32 v[30:31], s2, v[0:1]
	s_add_nc_u64 s[2:3], s[2:3], 8
	v_or_b32_e32 v28, v30, v28
	s_delay_alu instid0(VALU_DEP_2)
	v_or_b32_e32 v29, v31, v29
	s_cbranch_scc1 .LBB3_649
.LBB3_650:                              ;   in Loop: Header=BB3_618 Depth=2
	s_wait_xcnt 0x0
	s_mov_b64 s[2:3], s[20:21]
	s_mov_b32 s28, 0
	s_cbranch_execz .LBB3_652
	s_branch .LBB3_653
.LBB3_651:                              ;   in Loop: Header=BB3_618 Depth=2
	s_wait_xcnt 0x0
	s_add_nc_u64 s[2:3], s[20:21], 8
	s_mov_b32 s28, 0
.LBB3_652:                              ;   in Loop: Header=BB3_618 Depth=2
	global_load_b64 v[28:29], v1, s[20:21]
	s_add_co_i32 s28, s29, -8
.LBB3_653:                              ;   in Loop: Header=BB3_618 Depth=2
	s_delay_alu instid0(SALU_CYCLE_1)
	s_cmp_gt_u32 s28, 7
	s_cbranch_scc1 .LBB3_658
; %bb.654:                              ;   in Loop: Header=BB3_618 Depth=2
	v_mov_b64_e32 v[30:31], 0
	s_cmp_eq_u32 s28, 0
	s_cbranch_scc1 .LBB3_657
; %bb.655:                              ;   in Loop: Header=BB3_618 Depth=2
	s_wait_xcnt 0x0
	s_mov_b64 s[20:21], 0
	s_mov_b64 s[22:23], 0
.LBB3_656:                              ;   Parent Loop BB3_5 Depth=1
                                        ;     Parent Loop BB3_618 Depth=2
                                        ; =>    This Inner Loop Header: Depth=3
	s_wait_xcnt 0x0
	s_add_nc_u64 s[30:31], s[2:3], s[22:23]
	s_add_nc_u64 s[22:23], s[22:23], 1
	global_load_u8 v0, v1, s[30:31]
	s_cmp_lg_u32 s28, s22
	s_wait_loadcnt 0x0
	v_and_b32_e32 v0, 0xffff, v0
	s_delay_alu instid0(VALU_DEP_1) | instskip(SKIP_1) | instid1(VALU_DEP_1)
	v_lshlrev_b64_e32 v[32:33], s20, v[0:1]
	s_add_nc_u64 s[20:21], s[20:21], 8
	v_or_b32_e32 v30, v32, v30
	s_delay_alu instid0(VALU_DEP_2)
	v_or_b32_e32 v31, v33, v31
	s_cbranch_scc1 .LBB3_656
.LBB3_657:                              ;   in Loop: Header=BB3_618 Depth=2
	s_wait_xcnt 0x0
	s_mov_b64 s[20:21], s[2:3]
	s_mov_b32 s29, 0
	s_cbranch_execz .LBB3_659
	s_branch .LBB3_660
.LBB3_658:                              ;   in Loop: Header=BB3_618 Depth=2
	s_wait_xcnt 0x0
	s_add_nc_u64 s[20:21], s[2:3], 8
                                        ; implicit-def: $vgpr30_vgpr31
	s_mov_b32 s29, 0
.LBB3_659:                              ;   in Loop: Header=BB3_618 Depth=2
	global_load_b64 v[30:31], v1, s[2:3]
	s_add_co_i32 s29, s28, -8
.LBB3_660:                              ;   in Loop: Header=BB3_618 Depth=2
	s_delay_alu instid0(SALU_CYCLE_1)
	s_cmp_gt_u32 s29, 7
	s_cbranch_scc1 .LBB3_665
; %bb.661:                              ;   in Loop: Header=BB3_618 Depth=2
	v_mov_b64_e32 v[32:33], 0
	s_cmp_eq_u32 s29, 0
	s_cbranch_scc1 .LBB3_664
; %bb.662:                              ;   in Loop: Header=BB3_618 Depth=2
	s_wait_xcnt 0x0
	s_mov_b64 s[2:3], 0
	s_mov_b64 s[22:23], s[20:21]
.LBB3_663:                              ;   Parent Loop BB3_5 Depth=1
                                        ;     Parent Loop BB3_618 Depth=2
                                        ; =>    This Inner Loop Header: Depth=3
	global_load_u8 v0, v1, s[22:23]
	s_add_co_i32 s29, s29, -1
	s_wait_xcnt 0x0
	s_add_nc_u64 s[22:23], s[22:23], 1
	s_cmp_lg_u32 s29, 0
	s_wait_loadcnt 0x0
	v_and_b32_e32 v0, 0xffff, v0
	s_delay_alu instid0(VALU_DEP_1) | instskip(SKIP_1) | instid1(VALU_DEP_1)
	v_lshlrev_b64_e32 v[34:35], s2, v[0:1]
	s_add_nc_u64 s[2:3], s[2:3], 8
	v_or_b32_e32 v32, v34, v32
	s_delay_alu instid0(VALU_DEP_2)
	v_or_b32_e32 v33, v35, v33
	s_cbranch_scc1 .LBB3_663
.LBB3_664:                              ;   in Loop: Header=BB3_618 Depth=2
	s_wait_xcnt 0x0
	s_cbranch_execz .LBB3_666
	s_branch .LBB3_667
.LBB3_665:                              ;   in Loop: Header=BB3_618 Depth=2
	s_wait_xcnt 0x0
.LBB3_666:                              ;   in Loop: Header=BB3_618 Depth=2
	global_load_b64 v[32:33], v1, s[20:21]
.LBB3_667:                              ;   in Loop: Header=BB3_618 Depth=2
	v_readfirstlane_b32 s2, v40
	v_mov_b64_e32 v[50:51], 0
	s_delay_alu instid0(VALU_DEP_2)
	v_cmp_eq_u32_e64 s2, s2, v40
	s_wait_xcnt 0x0
	s_and_saveexec_b32 s3, s2
	s_cbranch_execz .LBB3_673
; %bb.668:                              ;   in Loop: Header=BB3_618 Depth=2
	global_load_b64 v[36:37], v1, s[10:11] offset:24 scope:SCOPE_SYS
	s_wait_loadcnt 0x0
	global_inv scope:SCOPE_SYS
	s_clause 0x1
	global_load_b64 v[34:35], v1, s[10:11] offset:40
	global_load_b64 v[50:51], v1, s[10:11]
	s_mov_b32 s20, exec_lo
	s_wait_loadcnt 0x1
	v_and_b32_e32 v34, v34, v36
	v_and_b32_e32 v35, v35, v37
	s_delay_alu instid0(VALU_DEP_1) | instskip(SKIP_1) | instid1(VALU_DEP_1)
	v_mul_u64_e32 v[34:35], 24, v[34:35]
	s_wait_loadcnt 0x0
	v_add_nc_u64_e32 v[34:35], v[50:51], v[34:35]
	global_load_b64 v[34:35], v[34:35], off scope:SCOPE_SYS
	s_wait_xcnt 0x0
	s_wait_loadcnt 0x0
	global_atomic_cmpswap_b64 v[50:51], v1, v[34:37], s[10:11] offset:24 th:TH_ATOMIC_RETURN scope:SCOPE_SYS
	s_wait_loadcnt 0x0
	global_inv scope:SCOPE_SYS
	s_wait_xcnt 0x0
	v_cmpx_ne_u64_e64 v[50:51], v[36:37]
	s_cbranch_execz .LBB3_672
; %bb.669:                              ;   in Loop: Header=BB3_618 Depth=2
	s_mov_b32 s21, 0
.LBB3_670:                              ;   Parent Loop BB3_5 Depth=1
                                        ;     Parent Loop BB3_618 Depth=2
                                        ; =>    This Inner Loop Header: Depth=3
	s_sleep 1
	s_clause 0x1
	global_load_b64 v[34:35], v1, s[10:11] offset:40
	global_load_b64 v[52:53], v1, s[10:11]
	v_mov_b64_e32 v[36:37], v[50:51]
	s_wait_loadcnt 0x1
	s_delay_alu instid0(VALU_DEP_1) | instskip(SKIP_1) | instid1(VALU_DEP_1)
	v_and_b32_e32 v0, v34, v36
	s_wait_loadcnt 0x0
	v_mad_nc_u64_u32 v[50:51], v0, 24, v[52:53]
	s_delay_alu instid0(VALU_DEP_3) | instskip(NEXT) | instid1(VALU_DEP_1)
	v_and_b32_e32 v0, v35, v37
	v_mad_u32 v51, v0, 24, v51
	global_load_b64 v[34:35], v[50:51], off scope:SCOPE_SYS
	s_wait_xcnt 0x0
	s_wait_loadcnt 0x0
	global_atomic_cmpswap_b64 v[50:51], v1, v[34:37], s[10:11] offset:24 th:TH_ATOMIC_RETURN scope:SCOPE_SYS
	s_wait_loadcnt 0x0
	global_inv scope:SCOPE_SYS
	v_cmp_eq_u64_e32 vcc_lo, v[50:51], v[36:37]
	s_or_b32 s21, vcc_lo, s21
	s_wait_xcnt 0x0
	s_and_not1_b32 exec_lo, exec_lo, s21
	s_cbranch_execnz .LBB3_670
; %bb.671:                              ;   in Loop: Header=BB3_618 Depth=2
	s_or_b32 exec_lo, exec_lo, s21
.LBB3_672:                              ;   in Loop: Header=BB3_618 Depth=2
	s_delay_alu instid0(SALU_CYCLE_1)
	s_or_b32 exec_lo, exec_lo, s20
.LBB3_673:                              ;   in Loop: Header=BB3_618 Depth=2
	s_delay_alu instid0(SALU_CYCLE_1)
	s_or_b32 exec_lo, exec_lo, s3
	s_clause 0x1
	global_load_b64 v[52:53], v1, s[10:11] offset:40
	global_load_b128 v[34:37], v1, s[10:11]
	v_readfirstlane_b32 s20, v50
	v_readfirstlane_b32 s21, v51
	s_mov_b32 s3, exec_lo
	s_wait_loadcnt 0x1
	v_and_b32_e32 v52, s20, v52
	v_and_b32_e32 v53, s21, v53
	s_delay_alu instid0(VALU_DEP_1) | instskip(SKIP_1) | instid1(VALU_DEP_1)
	v_mul_u64_e32 v[50:51], 24, v[52:53]
	s_wait_loadcnt 0x0
	v_add_nc_u64_e32 v[50:51], v[34:35], v[50:51]
	s_wait_xcnt 0x0
	s_and_saveexec_b32 s22, s2
	s_cbranch_execz .LBB3_675
; %bb.674:                              ;   in Loop: Header=BB3_618 Depth=2
	v_mov_b32_e32 v0, s3
	global_store_b128 v[50:51], v[0:3], off offset:8
.LBB3_675:                              ;   in Loop: Header=BB3_618 Depth=2
	s_wait_xcnt 0x0
	s_or_b32 exec_lo, exec_lo, s22
	v_cmp_lt_u64_e64 vcc_lo, s[16:17], 57
	v_lshlrev_b64_e32 v[52:53], 12, v[52:53]
	v_and_b32_e32 v5, 0xffffff1f, v16
	s_lshl_b32 s3, s18, 2
	s_delay_alu instid0(SALU_CYCLE_1) | instskip(SKIP_1) | instid1(VALU_DEP_3)
	s_add_co_i32 s3, s3, 28
	v_cndmask_b32_e32 v0, 0, v6, vcc_lo
	v_add_nc_u64_e32 v[36:37], v[36:37], v[52:53]
	s_delay_alu instid0(VALU_DEP_2) | instskip(NEXT) | instid1(VALU_DEP_2)
	v_or_b32_e32 v0, v5, v0
	v_readfirstlane_b32 s22, v36
	s_delay_alu instid0(VALU_DEP_3) | instskip(NEXT) | instid1(VALU_DEP_3)
	v_readfirstlane_b32 s23, v37
	v_and_or_b32 v16, 0x1e0, s3, v0
	s_clause 0x3
	global_store_b128 v42, v[16:19], s[22:23]
	global_store_b128 v42, v[22:25], s[22:23] offset:16
	global_store_b128 v42, v[26:29], s[22:23] offset:32
	;; [unrolled: 1-line block ×3, first 2 shown]
	s_wait_xcnt 0x0
	s_and_saveexec_b32 s3, s2
	s_cbranch_execz .LBB3_683
; %bb.676:                              ;   in Loop: Header=BB3_618 Depth=2
	s_clause 0x1
	global_load_b64 v[26:27], v1, s[10:11] offset:32 scope:SCOPE_SYS
	global_load_b64 v[16:17], v1, s[10:11] offset:40
	s_mov_b32 s22, exec_lo
	v_dual_mov_b32 v24, s20 :: v_dual_mov_b32 v25, s21
	s_wait_loadcnt 0x0
	v_and_b32_e32 v17, s21, v17
	v_and_b32_e32 v16, s20, v16
	s_delay_alu instid0(VALU_DEP_1) | instskip(NEXT) | instid1(VALU_DEP_1)
	v_mul_u64_e32 v[16:17], 24, v[16:17]
	v_add_nc_u64_e32 v[22:23], v[34:35], v[16:17]
	global_store_b64 v[22:23], v[26:27], off
	global_wb scope:SCOPE_SYS
	s_wait_storecnt 0x0
	s_wait_xcnt 0x0
	global_atomic_cmpswap_b64 v[18:19], v1, v[24:27], s[10:11] offset:32 th:TH_ATOMIC_RETURN scope:SCOPE_SYS
	s_wait_loadcnt 0x0
	v_cmpx_ne_u64_e64 v[18:19], v[26:27]
	s_cbranch_execz .LBB3_679
; %bb.677:                              ;   in Loop: Header=BB3_618 Depth=2
	s_mov_b32 s23, 0
.LBB3_678:                              ;   Parent Loop BB3_5 Depth=1
                                        ;     Parent Loop BB3_618 Depth=2
                                        ; =>    This Inner Loop Header: Depth=3
	v_dual_mov_b32 v16, s20 :: v_dual_mov_b32 v17, s21
	s_sleep 1
	global_store_b64 v[22:23], v[18:19], off
	global_wb scope:SCOPE_SYS
	s_wait_storecnt 0x0
	s_wait_xcnt 0x0
	global_atomic_cmpswap_b64 v[16:17], v1, v[16:19], s[10:11] offset:32 th:TH_ATOMIC_RETURN scope:SCOPE_SYS
	s_wait_loadcnt 0x0
	v_cmp_eq_u64_e32 vcc_lo, v[16:17], v[18:19]
	v_mov_b64_e32 v[18:19], v[16:17]
	s_or_b32 s23, vcc_lo, s23
	s_delay_alu instid0(SALU_CYCLE_1)
	s_and_not1_b32 exec_lo, exec_lo, s23
	s_cbranch_execnz .LBB3_678
.LBB3_679:                              ;   in Loop: Header=BB3_618 Depth=2
	s_or_b32 exec_lo, exec_lo, s22
	global_load_b64 v[16:17], v1, s[10:11] offset:16
	s_mov_b32 s23, exec_lo
	s_mov_b32 s22, exec_lo
	v_mbcnt_lo_u32_b32 v0, s23, 0
	s_wait_xcnt 0x0
	s_delay_alu instid0(VALU_DEP_1)
	v_cmpx_eq_u32_e32 0, v0
	s_cbranch_execz .LBB3_681
; %bb.680:                              ;   in Loop: Header=BB3_618 Depth=2
	s_bcnt1_i32_b32 s23, s23
	s_delay_alu instid0(SALU_CYCLE_1)
	v_mov_b32_e32 v0, s23
	global_wb scope:SCOPE_SYS
	s_wait_loadcnt 0x0
	s_wait_storecnt 0x0
	global_atomic_add_u64 v[16:17], v[0:1], off offset:8 scope:SCOPE_SYS
.LBB3_681:                              ;   in Loop: Header=BB3_618 Depth=2
	s_wait_xcnt 0x0
	s_or_b32 exec_lo, exec_lo, s22
	s_wait_loadcnt 0x0
	global_load_b64 v[18:19], v[16:17], off offset:16
	s_wait_loadcnt 0x0
	v_cmp_eq_u64_e32 vcc_lo, 0, v[18:19]
	s_cbranch_vccnz .LBB3_683
; %bb.682:                              ;   in Loop: Header=BB3_618 Depth=2
	global_load_b32 v0, v[16:17], off offset:24
	s_wait_loadcnt 0x0
	v_readfirstlane_b32 s22, v0
	global_wb scope:SCOPE_SYS
	s_wait_storecnt 0x0
	s_wait_xcnt 0x0
	global_store_b64 v[18:19], v[0:1], off scope:SCOPE_SYS
	s_and_b32 m0, s22, 0xffffff
	s_sendmsg sendmsg(MSG_INTERRUPT)
.LBB3_683:                              ;   in Loop: Header=BB3_618 Depth=2
	s_wait_xcnt 0x0
	s_or_b32 exec_lo, exec_lo, s3
	v_mov_b32_e32 v43, v1
	s_delay_alu instid0(VALU_DEP_1)
	v_add_nc_u64_e32 v[16:17], v[36:37], v[42:43]
	s_branch .LBB3_687
.LBB3_684:                              ;   in Loop: Header=BB3_687 Depth=3
	s_wait_xcnt 0x0
	s_or_b32 exec_lo, exec_lo, s3
	s_delay_alu instid0(VALU_DEP_1)
	v_readfirstlane_b32 s3, v0
	s_cmp_eq_u32 s3, 0
	s_cbranch_scc1 .LBB3_686
; %bb.685:                              ;   in Loop: Header=BB3_687 Depth=3
	s_sleep 1
	s_cbranch_execnz .LBB3_687
	s_branch .LBB3_689
.LBB3_686:                              ;   in Loop: Header=BB3_618 Depth=2
	s_branch .LBB3_689
.LBB3_687:                              ;   Parent Loop BB3_5 Depth=1
                                        ;     Parent Loop BB3_618 Depth=2
                                        ; =>    This Inner Loop Header: Depth=3
	v_mov_b32_e32 v0, 1
	s_and_saveexec_b32 s3, s2
	s_cbranch_execz .LBB3_684
; %bb.688:                              ;   in Loop: Header=BB3_687 Depth=3
	global_load_b32 v0, v[50:51], off offset:20 scope:SCOPE_SYS
	s_wait_loadcnt 0x0
	global_inv scope:SCOPE_SYS
	v_and_b32_e32 v0, 1, v0
	s_branch .LBB3_684
.LBB3_689:                              ;   in Loop: Header=BB3_618 Depth=2
	global_load_b64 v[16:17], v[16:17], off
	s_wait_xcnt 0x0
	s_and_saveexec_b32 s22, s2
	s_cbranch_execz .LBB3_617
; %bb.690:                              ;   in Loop: Header=BB3_618 Depth=2
	s_clause 0x2
	global_load_b64 v[18:19], v1, s[10:11] offset:40
	global_load_b64 v[26:27], v1, s[10:11] offset:24 scope:SCOPE_SYS
	global_load_b64 v[22:23], v1, s[10:11]
	s_wait_loadcnt 0x2
	v_readfirstlane_b32 s28, v18
	v_readfirstlane_b32 s29, v19
	s_add_nc_u64 s[2:3], s[28:29], 1
	s_delay_alu instid0(SALU_CYCLE_1) | instskip(NEXT) | instid1(SALU_CYCLE_1)
	s_add_nc_u64 s[20:21], s[2:3], s[20:21]
	s_cmp_eq_u64 s[20:21], 0
	s_cselect_b32 s3, s3, s21
	s_cselect_b32 s2, s2, s20
	s_delay_alu instid0(SALU_CYCLE_1) | instskip(SKIP_1) | instid1(SALU_CYCLE_1)
	v_dual_mov_b32 v25, s3 :: v_dual_mov_b32 v24, s2
	s_and_b64 s[20:21], s[2:3], s[28:29]
	s_mul_u64 s[20:21], s[20:21], 24
	s_wait_loadcnt 0x0
	v_add_nc_u64_e32 v[18:19], s[20:21], v[22:23]
	global_store_b64 v[18:19], v[26:27], off
	global_wb scope:SCOPE_SYS
	s_wait_storecnt 0x0
	s_wait_xcnt 0x0
	global_atomic_cmpswap_b64 v[24:25], v1, v[24:27], s[10:11] offset:24 th:TH_ATOMIC_RETURN scope:SCOPE_SYS
	s_wait_loadcnt 0x0
	v_cmp_ne_u64_e32 vcc_lo, v[24:25], v[26:27]
	s_and_b32 exec_lo, exec_lo, vcc_lo
	s_cbranch_execz .LBB3_617
; %bb.691:                              ;   in Loop: Header=BB3_618 Depth=2
	s_mov_b32 s20, 0
.LBB3_692:                              ;   Parent Loop BB3_5 Depth=1
                                        ;     Parent Loop BB3_618 Depth=2
                                        ; =>    This Inner Loop Header: Depth=3
	v_dual_mov_b32 v22, s2 :: v_dual_mov_b32 v23, s3
	s_sleep 1
	global_store_b64 v[18:19], v[24:25], off
	global_wb scope:SCOPE_SYS
	s_wait_storecnt 0x0
	s_wait_xcnt 0x0
	global_atomic_cmpswap_b64 v[22:23], v1, v[22:25], s[10:11] offset:24 th:TH_ATOMIC_RETURN scope:SCOPE_SYS
	s_wait_loadcnt 0x0
	v_cmp_eq_u64_e32 vcc_lo, v[22:23], v[24:25]
	v_mov_b64_e32 v[24:25], v[22:23]
	s_or_b32 s20, vcc_lo, s20
	s_delay_alu instid0(SALU_CYCLE_1)
	s_and_not1_b32 exec_lo, exec_lo, s20
	s_cbranch_execnz .LBB3_692
	s_branch .LBB3_617
.LBB3_693:                              ;   in Loop: Header=BB3_5 Depth=1
.LBB3_694:                              ;   in Loop: Header=BB3_5 Depth=1
	s_and_b32 vcc_lo, exec_lo, s26
	s_cbranch_vccz .LBB3_801
.LBB3_695:                              ;   in Loop: Header=BB3_5 Depth=1
	s_wait_loadcnt 0x0
	v_dual_mov_b32 v19, v17 :: v_dual_bitop2_b32 v6, 2, v16 bitop3:0x40
	v_and_b32_e32 v18, -3, v16
	s_mov_b64 s[16:17], 56
	s_get_pc_i64 s[14:15]
	s_add_nc_u64 s[14:15], s[14:15], .str.4@rel64+4
	s_branch .LBB3_697
.LBB3_696:                              ;   in Loop: Header=BB3_697 Depth=2
	s_or_b32 exec_lo, exec_lo, s22
	s_sub_nc_u64 s[16:17], s[16:17], s[18:19]
	s_add_nc_u64 s[14:15], s[14:15], s[18:19]
	s_cmp_lg_u64 s[16:17], 0
	s_cbranch_scc0 .LBB3_772
.LBB3_697:                              ;   Parent Loop BB3_5 Depth=1
                                        ; =>  This Loop Header: Depth=2
                                        ;       Child Loop BB3_700 Depth 3
                                        ;       Child Loop BB3_707 Depth 3
                                        ;       Child Loop BB3_714 Depth 3
                                        ;       Child Loop BB3_721 Depth 3
                                        ;       Child Loop BB3_728 Depth 3
                                        ;       Child Loop BB3_735 Depth 3
                                        ;       Child Loop BB3_742 Depth 3
                                        ;       Child Loop BB3_749 Depth 3
                                        ;       Child Loop BB3_757 Depth 3
                                        ;       Child Loop BB3_766 Depth 3
                                        ;       Child Loop BB3_771 Depth 3
	v_min_u64 v[20:21], s[16:17], 56
	v_cmp_gt_u64_e64 s2, s[16:17], 7
	s_and_b32 vcc_lo, exec_lo, s2
	v_readfirstlane_b32 s18, v20
	v_readfirstlane_b32 s19, v21
	s_cbranch_vccnz .LBB3_702
; %bb.698:                              ;   in Loop: Header=BB3_697 Depth=2
	v_mov_b64_e32 v[20:21], 0
	s_cmp_eq_u64 s[16:17], 0
	s_cbranch_scc1 .LBB3_701
; %bb.699:                              ;   in Loop: Header=BB3_697 Depth=2
	s_mov_b64 s[2:3], 0
	s_mov_b64 s[20:21], 0
.LBB3_700:                              ;   Parent Loop BB3_5 Depth=1
                                        ;     Parent Loop BB3_697 Depth=2
                                        ; =>    This Inner Loop Header: Depth=3
	s_wait_xcnt 0x0
	s_add_nc_u64 s[22:23], s[14:15], s[20:21]
	s_add_nc_u64 s[20:21], s[20:21], 1
	global_load_u8 v0, v1, s[22:23]
	s_cmp_lg_u32 s18, s20
	s_wait_loadcnt 0x0
	v_and_b32_e32 v0, 0xffff, v0
	s_delay_alu instid0(VALU_DEP_1) | instskip(SKIP_1) | instid1(VALU_DEP_1)
	v_lshlrev_b64_e32 v[22:23], s2, v[0:1]
	s_add_nc_u64 s[2:3], s[2:3], 8
	v_or_b32_e32 v20, v22, v20
	s_delay_alu instid0(VALU_DEP_2)
	v_or_b32_e32 v21, v23, v21
	s_cbranch_scc1 .LBB3_700
.LBB3_701:                              ;   in Loop: Header=BB3_697 Depth=2
	s_mov_b64 s[2:3], s[14:15]
	s_mov_b32 s28, 0
	s_cbranch_execz .LBB3_703
	s_branch .LBB3_704
.LBB3_702:                              ;   in Loop: Header=BB3_697 Depth=2
	s_add_nc_u64 s[2:3], s[14:15], 8
	s_mov_b32 s28, 0
.LBB3_703:                              ;   in Loop: Header=BB3_697 Depth=2
	global_load_b64 v[20:21], v1, s[14:15]
	s_add_co_i32 s28, s18, -8
.LBB3_704:                              ;   in Loop: Header=BB3_697 Depth=2
	s_delay_alu instid0(SALU_CYCLE_1)
	s_cmp_gt_u32 s28, 7
	s_cbranch_scc1 .LBB3_709
; %bb.705:                              ;   in Loop: Header=BB3_697 Depth=2
	v_mov_b64_e32 v[22:23], 0
	s_cmp_eq_u32 s28, 0
	s_cbranch_scc1 .LBB3_708
; %bb.706:                              ;   in Loop: Header=BB3_697 Depth=2
	s_mov_b64 s[20:21], 0
	s_wait_xcnt 0x0
	s_mov_b64 s[22:23], 0
.LBB3_707:                              ;   Parent Loop BB3_5 Depth=1
                                        ;     Parent Loop BB3_697 Depth=2
                                        ; =>    This Inner Loop Header: Depth=3
	s_wait_xcnt 0x0
	s_add_nc_u64 s[30:31], s[2:3], s[22:23]
	s_add_nc_u64 s[22:23], s[22:23], 1
	global_load_u8 v0, v1, s[30:31]
	s_cmp_lg_u32 s28, s22
	s_wait_loadcnt 0x0
	v_and_b32_e32 v0, 0xffff, v0
	s_delay_alu instid0(VALU_DEP_1) | instskip(SKIP_1) | instid1(VALU_DEP_1)
	v_lshlrev_b64_e32 v[24:25], s20, v[0:1]
	s_add_nc_u64 s[20:21], s[20:21], 8
	v_or_b32_e32 v22, v24, v22
	s_delay_alu instid0(VALU_DEP_2)
	v_or_b32_e32 v23, v25, v23
	s_cbranch_scc1 .LBB3_707
.LBB3_708:                              ;   in Loop: Header=BB3_697 Depth=2
	s_wait_xcnt 0x0
	s_mov_b64 s[20:21], s[2:3]
	s_mov_b32 s29, 0
	s_cbranch_execz .LBB3_710
	s_branch .LBB3_711
.LBB3_709:                              ;   in Loop: Header=BB3_697 Depth=2
	s_add_nc_u64 s[20:21], s[2:3], 8
	s_wait_xcnt 0x0
                                        ; implicit-def: $vgpr22_vgpr23
	s_mov_b32 s29, 0
.LBB3_710:                              ;   in Loop: Header=BB3_697 Depth=2
	global_load_b64 v[22:23], v1, s[2:3]
	s_add_co_i32 s29, s28, -8
.LBB3_711:                              ;   in Loop: Header=BB3_697 Depth=2
	s_delay_alu instid0(SALU_CYCLE_1)
	s_cmp_gt_u32 s29, 7
	s_cbranch_scc1 .LBB3_716
; %bb.712:                              ;   in Loop: Header=BB3_697 Depth=2
	v_mov_b64_e32 v[24:25], 0
	s_cmp_eq_u32 s29, 0
	s_cbranch_scc1 .LBB3_715
; %bb.713:                              ;   in Loop: Header=BB3_697 Depth=2
	s_wait_xcnt 0x0
	s_mov_b64 s[2:3], 0
	s_mov_b64 s[22:23], 0
.LBB3_714:                              ;   Parent Loop BB3_5 Depth=1
                                        ;     Parent Loop BB3_697 Depth=2
                                        ; =>    This Inner Loop Header: Depth=3
	s_wait_xcnt 0x0
	s_add_nc_u64 s[30:31], s[20:21], s[22:23]
	s_add_nc_u64 s[22:23], s[22:23], 1
	global_load_u8 v0, v1, s[30:31]
	s_cmp_lg_u32 s29, s22
	s_wait_loadcnt 0x0
	v_and_b32_e32 v0, 0xffff, v0
	s_delay_alu instid0(VALU_DEP_1) | instskip(SKIP_1) | instid1(VALU_DEP_1)
	v_lshlrev_b64_e32 v[26:27], s2, v[0:1]
	s_add_nc_u64 s[2:3], s[2:3], 8
	v_or_b32_e32 v24, v26, v24
	s_delay_alu instid0(VALU_DEP_2)
	v_or_b32_e32 v25, v27, v25
	s_cbranch_scc1 .LBB3_714
.LBB3_715:                              ;   in Loop: Header=BB3_697 Depth=2
	s_wait_xcnt 0x0
	s_mov_b64 s[2:3], s[20:21]
	s_mov_b32 s28, 0
	s_cbranch_execz .LBB3_717
	s_branch .LBB3_718
.LBB3_716:                              ;   in Loop: Header=BB3_697 Depth=2
	s_wait_xcnt 0x0
	s_add_nc_u64 s[2:3], s[20:21], 8
	s_mov_b32 s28, 0
.LBB3_717:                              ;   in Loop: Header=BB3_697 Depth=2
	global_load_b64 v[24:25], v1, s[20:21]
	s_add_co_i32 s28, s29, -8
.LBB3_718:                              ;   in Loop: Header=BB3_697 Depth=2
	s_delay_alu instid0(SALU_CYCLE_1)
	s_cmp_gt_u32 s28, 7
	s_cbranch_scc1 .LBB3_723
; %bb.719:                              ;   in Loop: Header=BB3_697 Depth=2
	v_mov_b64_e32 v[26:27], 0
	s_cmp_eq_u32 s28, 0
	s_cbranch_scc1 .LBB3_722
; %bb.720:                              ;   in Loop: Header=BB3_697 Depth=2
	s_wait_xcnt 0x0
	s_mov_b64 s[20:21], 0
	s_mov_b64 s[22:23], 0
.LBB3_721:                              ;   Parent Loop BB3_5 Depth=1
                                        ;     Parent Loop BB3_697 Depth=2
                                        ; =>    This Inner Loop Header: Depth=3
	s_wait_xcnt 0x0
	s_add_nc_u64 s[30:31], s[2:3], s[22:23]
	s_add_nc_u64 s[22:23], s[22:23], 1
	global_load_u8 v0, v1, s[30:31]
	s_cmp_lg_u32 s28, s22
	s_wait_loadcnt 0x0
	v_and_b32_e32 v0, 0xffff, v0
	s_delay_alu instid0(VALU_DEP_1) | instskip(SKIP_1) | instid1(VALU_DEP_1)
	v_lshlrev_b64_e32 v[28:29], s20, v[0:1]
	s_add_nc_u64 s[20:21], s[20:21], 8
	v_or_b32_e32 v26, v28, v26
	s_delay_alu instid0(VALU_DEP_2)
	v_or_b32_e32 v27, v29, v27
	s_cbranch_scc1 .LBB3_721
.LBB3_722:                              ;   in Loop: Header=BB3_697 Depth=2
	s_wait_xcnt 0x0
	s_mov_b64 s[20:21], s[2:3]
	s_mov_b32 s29, 0
	s_cbranch_execz .LBB3_724
	s_branch .LBB3_725
.LBB3_723:                              ;   in Loop: Header=BB3_697 Depth=2
	s_wait_xcnt 0x0
	s_add_nc_u64 s[20:21], s[2:3], 8
                                        ; implicit-def: $vgpr26_vgpr27
	s_mov_b32 s29, 0
.LBB3_724:                              ;   in Loop: Header=BB3_697 Depth=2
	global_load_b64 v[26:27], v1, s[2:3]
	s_add_co_i32 s29, s28, -8
.LBB3_725:                              ;   in Loop: Header=BB3_697 Depth=2
	s_delay_alu instid0(SALU_CYCLE_1)
	s_cmp_gt_u32 s29, 7
	s_cbranch_scc1 .LBB3_730
; %bb.726:                              ;   in Loop: Header=BB3_697 Depth=2
	v_mov_b64_e32 v[28:29], 0
	s_cmp_eq_u32 s29, 0
	s_cbranch_scc1 .LBB3_729
; %bb.727:                              ;   in Loop: Header=BB3_697 Depth=2
	s_wait_xcnt 0x0
	s_mov_b64 s[2:3], 0
	s_mov_b64 s[22:23], 0
.LBB3_728:                              ;   Parent Loop BB3_5 Depth=1
                                        ;     Parent Loop BB3_697 Depth=2
                                        ; =>    This Inner Loop Header: Depth=3
	s_wait_xcnt 0x0
	s_add_nc_u64 s[30:31], s[20:21], s[22:23]
	s_add_nc_u64 s[22:23], s[22:23], 1
	global_load_u8 v0, v1, s[30:31]
	s_cmp_lg_u32 s29, s22
	s_wait_loadcnt 0x0
	v_and_b32_e32 v0, 0xffff, v0
	s_delay_alu instid0(VALU_DEP_1) | instskip(SKIP_1) | instid1(VALU_DEP_1)
	v_lshlrev_b64_e32 v[30:31], s2, v[0:1]
	s_add_nc_u64 s[2:3], s[2:3], 8
	v_or_b32_e32 v28, v30, v28
	s_delay_alu instid0(VALU_DEP_2)
	v_or_b32_e32 v29, v31, v29
	s_cbranch_scc1 .LBB3_728
.LBB3_729:                              ;   in Loop: Header=BB3_697 Depth=2
	s_wait_xcnt 0x0
	s_mov_b64 s[2:3], s[20:21]
	s_mov_b32 s28, 0
	s_cbranch_execz .LBB3_731
	s_branch .LBB3_732
.LBB3_730:                              ;   in Loop: Header=BB3_697 Depth=2
	s_wait_xcnt 0x0
	s_add_nc_u64 s[2:3], s[20:21], 8
	s_mov_b32 s28, 0
.LBB3_731:                              ;   in Loop: Header=BB3_697 Depth=2
	global_load_b64 v[28:29], v1, s[20:21]
	s_add_co_i32 s28, s29, -8
.LBB3_732:                              ;   in Loop: Header=BB3_697 Depth=2
	s_delay_alu instid0(SALU_CYCLE_1)
	s_cmp_gt_u32 s28, 7
	s_cbranch_scc1 .LBB3_737
; %bb.733:                              ;   in Loop: Header=BB3_697 Depth=2
	v_mov_b64_e32 v[30:31], 0
	s_cmp_eq_u32 s28, 0
	s_cbranch_scc1 .LBB3_736
; %bb.734:                              ;   in Loop: Header=BB3_697 Depth=2
	s_wait_xcnt 0x0
	s_mov_b64 s[20:21], 0
	s_mov_b64 s[22:23], 0
.LBB3_735:                              ;   Parent Loop BB3_5 Depth=1
                                        ;     Parent Loop BB3_697 Depth=2
                                        ; =>    This Inner Loop Header: Depth=3
	s_wait_xcnt 0x0
	s_add_nc_u64 s[30:31], s[2:3], s[22:23]
	s_add_nc_u64 s[22:23], s[22:23], 1
	global_load_u8 v0, v1, s[30:31]
	s_cmp_lg_u32 s28, s22
	s_wait_loadcnt 0x0
	v_and_b32_e32 v0, 0xffff, v0
	s_delay_alu instid0(VALU_DEP_1) | instskip(SKIP_1) | instid1(VALU_DEP_1)
	v_lshlrev_b64_e32 v[32:33], s20, v[0:1]
	s_add_nc_u64 s[20:21], s[20:21], 8
	v_or_b32_e32 v30, v32, v30
	s_delay_alu instid0(VALU_DEP_2)
	v_or_b32_e32 v31, v33, v31
	s_cbranch_scc1 .LBB3_735
.LBB3_736:                              ;   in Loop: Header=BB3_697 Depth=2
	s_wait_xcnt 0x0
	s_mov_b64 s[20:21], s[2:3]
	s_mov_b32 s29, 0
	s_cbranch_execz .LBB3_738
	s_branch .LBB3_739
.LBB3_737:                              ;   in Loop: Header=BB3_697 Depth=2
	s_wait_xcnt 0x0
	s_add_nc_u64 s[20:21], s[2:3], 8
                                        ; implicit-def: $vgpr30_vgpr31
	s_mov_b32 s29, 0
.LBB3_738:                              ;   in Loop: Header=BB3_697 Depth=2
	global_load_b64 v[30:31], v1, s[2:3]
	s_add_co_i32 s29, s28, -8
.LBB3_739:                              ;   in Loop: Header=BB3_697 Depth=2
	s_delay_alu instid0(SALU_CYCLE_1)
	s_cmp_gt_u32 s29, 7
	s_cbranch_scc1 .LBB3_744
; %bb.740:                              ;   in Loop: Header=BB3_697 Depth=2
	v_mov_b64_e32 v[32:33], 0
	s_cmp_eq_u32 s29, 0
	s_cbranch_scc1 .LBB3_743
; %bb.741:                              ;   in Loop: Header=BB3_697 Depth=2
	s_wait_xcnt 0x0
	s_mov_b64 s[2:3], 0
	s_mov_b64 s[22:23], s[20:21]
.LBB3_742:                              ;   Parent Loop BB3_5 Depth=1
                                        ;     Parent Loop BB3_697 Depth=2
                                        ; =>    This Inner Loop Header: Depth=3
	global_load_u8 v0, v1, s[22:23]
	s_add_co_i32 s29, s29, -1
	s_wait_xcnt 0x0
	s_add_nc_u64 s[22:23], s[22:23], 1
	s_cmp_lg_u32 s29, 0
	s_wait_loadcnt 0x0
	v_and_b32_e32 v0, 0xffff, v0
	s_delay_alu instid0(VALU_DEP_1) | instskip(SKIP_1) | instid1(VALU_DEP_1)
	v_lshlrev_b64_e32 v[34:35], s2, v[0:1]
	s_add_nc_u64 s[2:3], s[2:3], 8
	v_or_b32_e32 v32, v34, v32
	s_delay_alu instid0(VALU_DEP_2)
	v_or_b32_e32 v33, v35, v33
	s_cbranch_scc1 .LBB3_742
.LBB3_743:                              ;   in Loop: Header=BB3_697 Depth=2
	s_wait_xcnt 0x0
	s_cbranch_execz .LBB3_745
	s_branch .LBB3_746
.LBB3_744:                              ;   in Loop: Header=BB3_697 Depth=2
	s_wait_xcnt 0x0
.LBB3_745:                              ;   in Loop: Header=BB3_697 Depth=2
	global_load_b64 v[32:33], v1, s[20:21]
.LBB3_746:                              ;   in Loop: Header=BB3_697 Depth=2
	v_readfirstlane_b32 s2, v40
	v_mov_b64_e32 v[50:51], 0
	s_delay_alu instid0(VALU_DEP_2)
	v_cmp_eq_u32_e64 s2, s2, v40
	s_wait_xcnt 0x0
	s_and_saveexec_b32 s3, s2
	s_cbranch_execz .LBB3_752
; %bb.747:                              ;   in Loop: Header=BB3_697 Depth=2
	global_load_b64 v[36:37], v1, s[10:11] offset:24 scope:SCOPE_SYS
	s_wait_loadcnt 0x0
	global_inv scope:SCOPE_SYS
	s_clause 0x1
	global_load_b64 v[34:35], v1, s[10:11] offset:40
	global_load_b64 v[50:51], v1, s[10:11]
	s_mov_b32 s20, exec_lo
	s_wait_loadcnt 0x1
	v_and_b32_e32 v34, v34, v36
	v_and_b32_e32 v35, v35, v37
	s_delay_alu instid0(VALU_DEP_1) | instskip(SKIP_1) | instid1(VALU_DEP_1)
	v_mul_u64_e32 v[34:35], 24, v[34:35]
	s_wait_loadcnt 0x0
	v_add_nc_u64_e32 v[34:35], v[50:51], v[34:35]
	global_load_b64 v[34:35], v[34:35], off scope:SCOPE_SYS
	s_wait_xcnt 0x0
	s_wait_loadcnt 0x0
	global_atomic_cmpswap_b64 v[50:51], v1, v[34:37], s[10:11] offset:24 th:TH_ATOMIC_RETURN scope:SCOPE_SYS
	s_wait_loadcnt 0x0
	global_inv scope:SCOPE_SYS
	s_wait_xcnt 0x0
	v_cmpx_ne_u64_e64 v[50:51], v[36:37]
	s_cbranch_execz .LBB3_751
; %bb.748:                              ;   in Loop: Header=BB3_697 Depth=2
	s_mov_b32 s21, 0
.LBB3_749:                              ;   Parent Loop BB3_5 Depth=1
                                        ;     Parent Loop BB3_697 Depth=2
                                        ; =>    This Inner Loop Header: Depth=3
	s_sleep 1
	s_clause 0x1
	global_load_b64 v[34:35], v1, s[10:11] offset:40
	global_load_b64 v[52:53], v1, s[10:11]
	v_mov_b64_e32 v[36:37], v[50:51]
	s_wait_loadcnt 0x1
	s_delay_alu instid0(VALU_DEP_1) | instskip(SKIP_1) | instid1(VALU_DEP_1)
	v_and_b32_e32 v0, v34, v36
	s_wait_loadcnt 0x0
	v_mad_nc_u64_u32 v[50:51], v0, 24, v[52:53]
	s_delay_alu instid0(VALU_DEP_3) | instskip(NEXT) | instid1(VALU_DEP_1)
	v_and_b32_e32 v0, v35, v37
	v_mad_u32 v51, v0, 24, v51
	global_load_b64 v[34:35], v[50:51], off scope:SCOPE_SYS
	s_wait_xcnt 0x0
	s_wait_loadcnt 0x0
	global_atomic_cmpswap_b64 v[50:51], v1, v[34:37], s[10:11] offset:24 th:TH_ATOMIC_RETURN scope:SCOPE_SYS
	s_wait_loadcnt 0x0
	global_inv scope:SCOPE_SYS
	v_cmp_eq_u64_e32 vcc_lo, v[50:51], v[36:37]
	s_or_b32 s21, vcc_lo, s21
	s_wait_xcnt 0x0
	s_and_not1_b32 exec_lo, exec_lo, s21
	s_cbranch_execnz .LBB3_749
; %bb.750:                              ;   in Loop: Header=BB3_697 Depth=2
	s_or_b32 exec_lo, exec_lo, s21
.LBB3_751:                              ;   in Loop: Header=BB3_697 Depth=2
	s_delay_alu instid0(SALU_CYCLE_1)
	s_or_b32 exec_lo, exec_lo, s20
.LBB3_752:                              ;   in Loop: Header=BB3_697 Depth=2
	s_delay_alu instid0(SALU_CYCLE_1)
	s_or_b32 exec_lo, exec_lo, s3
	s_clause 0x1
	global_load_b64 v[52:53], v1, s[10:11] offset:40
	global_load_b128 v[34:37], v1, s[10:11]
	v_readfirstlane_b32 s20, v50
	v_readfirstlane_b32 s21, v51
	s_mov_b32 s3, exec_lo
	s_wait_loadcnt 0x1
	v_and_b32_e32 v52, s20, v52
	v_and_b32_e32 v53, s21, v53
	s_delay_alu instid0(VALU_DEP_1) | instskip(SKIP_1) | instid1(VALU_DEP_1)
	v_mul_u64_e32 v[50:51], 24, v[52:53]
	s_wait_loadcnt 0x0
	v_add_nc_u64_e32 v[50:51], v[34:35], v[50:51]
	s_wait_xcnt 0x0
	s_and_saveexec_b32 s22, s2
	s_cbranch_execz .LBB3_754
; %bb.753:                              ;   in Loop: Header=BB3_697 Depth=2
	v_mov_b32_e32 v0, s3
	global_store_b128 v[50:51], v[0:3], off offset:8
.LBB3_754:                              ;   in Loop: Header=BB3_697 Depth=2
	s_wait_xcnt 0x0
	s_or_b32 exec_lo, exec_lo, s22
	v_cmp_lt_u64_e64 vcc_lo, s[16:17], 57
	v_lshlrev_b64_e32 v[52:53], 12, v[52:53]
	v_and_b32_e32 v5, 0xffffff1f, v18
	s_lshl_b32 s3, s18, 2
	s_delay_alu instid0(SALU_CYCLE_1) | instskip(SKIP_1) | instid1(VALU_DEP_3)
	s_add_co_i32 s3, s3, 28
	v_cndmask_b32_e32 v0, 0, v6, vcc_lo
	v_add_nc_u64_e32 v[36:37], v[36:37], v[52:53]
	s_delay_alu instid0(VALU_DEP_2) | instskip(NEXT) | instid1(VALU_DEP_2)
	v_or_b32_e32 v0, v5, v0
	v_readfirstlane_b32 s22, v36
	s_delay_alu instid0(VALU_DEP_3) | instskip(NEXT) | instid1(VALU_DEP_3)
	v_readfirstlane_b32 s23, v37
	v_and_or_b32 v18, 0x1e0, s3, v0
	s_clause 0x3
	global_store_b128 v42, v[18:21], s[22:23]
	global_store_b128 v42, v[22:25], s[22:23] offset:16
	global_store_b128 v42, v[26:29], s[22:23] offset:32
	;; [unrolled: 1-line block ×3, first 2 shown]
	s_wait_xcnt 0x0
	s_and_saveexec_b32 s3, s2
	s_cbranch_execz .LBB3_762
; %bb.755:                              ;   in Loop: Header=BB3_697 Depth=2
	s_clause 0x1
	global_load_b64 v[26:27], v1, s[10:11] offset:32 scope:SCOPE_SYS
	global_load_b64 v[18:19], v1, s[10:11] offset:40
	s_mov_b32 s22, exec_lo
	v_dual_mov_b32 v24, s20 :: v_dual_mov_b32 v25, s21
	s_wait_loadcnt 0x0
	v_and_b32_e32 v19, s21, v19
	v_and_b32_e32 v18, s20, v18
	s_delay_alu instid0(VALU_DEP_1) | instskip(NEXT) | instid1(VALU_DEP_1)
	v_mul_u64_e32 v[18:19], 24, v[18:19]
	v_add_nc_u64_e32 v[22:23], v[34:35], v[18:19]
	global_store_b64 v[22:23], v[26:27], off
	global_wb scope:SCOPE_SYS
	s_wait_storecnt 0x0
	s_wait_xcnt 0x0
	global_atomic_cmpswap_b64 v[20:21], v1, v[24:27], s[10:11] offset:32 th:TH_ATOMIC_RETURN scope:SCOPE_SYS
	s_wait_loadcnt 0x0
	v_cmpx_ne_u64_e64 v[20:21], v[26:27]
	s_cbranch_execz .LBB3_758
; %bb.756:                              ;   in Loop: Header=BB3_697 Depth=2
	s_mov_b32 s23, 0
.LBB3_757:                              ;   Parent Loop BB3_5 Depth=1
                                        ;     Parent Loop BB3_697 Depth=2
                                        ; =>    This Inner Loop Header: Depth=3
	v_dual_mov_b32 v18, s20 :: v_dual_mov_b32 v19, s21
	s_sleep 1
	global_store_b64 v[22:23], v[20:21], off
	global_wb scope:SCOPE_SYS
	s_wait_storecnt 0x0
	s_wait_xcnt 0x0
	global_atomic_cmpswap_b64 v[18:19], v1, v[18:21], s[10:11] offset:32 th:TH_ATOMIC_RETURN scope:SCOPE_SYS
	s_wait_loadcnt 0x0
	v_cmp_eq_u64_e32 vcc_lo, v[18:19], v[20:21]
	v_mov_b64_e32 v[20:21], v[18:19]
	s_or_b32 s23, vcc_lo, s23
	s_delay_alu instid0(SALU_CYCLE_1)
	s_and_not1_b32 exec_lo, exec_lo, s23
	s_cbranch_execnz .LBB3_757
.LBB3_758:                              ;   in Loop: Header=BB3_697 Depth=2
	s_or_b32 exec_lo, exec_lo, s22
	global_load_b64 v[18:19], v1, s[10:11] offset:16
	s_mov_b32 s23, exec_lo
	s_mov_b32 s22, exec_lo
	v_mbcnt_lo_u32_b32 v0, s23, 0
	s_wait_xcnt 0x0
	s_delay_alu instid0(VALU_DEP_1)
	v_cmpx_eq_u32_e32 0, v0
	s_cbranch_execz .LBB3_760
; %bb.759:                              ;   in Loop: Header=BB3_697 Depth=2
	s_bcnt1_i32_b32 s23, s23
	s_delay_alu instid0(SALU_CYCLE_1)
	v_mov_b32_e32 v0, s23
	global_wb scope:SCOPE_SYS
	s_wait_loadcnt 0x0
	s_wait_storecnt 0x0
	global_atomic_add_u64 v[18:19], v[0:1], off offset:8 scope:SCOPE_SYS
.LBB3_760:                              ;   in Loop: Header=BB3_697 Depth=2
	s_wait_xcnt 0x0
	s_or_b32 exec_lo, exec_lo, s22
	s_wait_loadcnt 0x0
	global_load_b64 v[20:21], v[18:19], off offset:16
	s_wait_loadcnt 0x0
	v_cmp_eq_u64_e32 vcc_lo, 0, v[20:21]
	s_cbranch_vccnz .LBB3_762
; %bb.761:                              ;   in Loop: Header=BB3_697 Depth=2
	global_load_b32 v0, v[18:19], off offset:24
	s_wait_loadcnt 0x0
	v_readfirstlane_b32 s22, v0
	global_wb scope:SCOPE_SYS
	s_wait_storecnt 0x0
	s_wait_xcnt 0x0
	global_store_b64 v[20:21], v[0:1], off scope:SCOPE_SYS
	s_and_b32 m0, s22, 0xffffff
	s_sendmsg sendmsg(MSG_INTERRUPT)
.LBB3_762:                              ;   in Loop: Header=BB3_697 Depth=2
	s_wait_xcnt 0x0
	s_or_b32 exec_lo, exec_lo, s3
	v_mov_b32_e32 v43, v1
	s_delay_alu instid0(VALU_DEP_1)
	v_add_nc_u64_e32 v[18:19], v[36:37], v[42:43]
	s_branch .LBB3_766
.LBB3_763:                              ;   in Loop: Header=BB3_766 Depth=3
	s_wait_xcnt 0x0
	s_or_b32 exec_lo, exec_lo, s3
	s_delay_alu instid0(VALU_DEP_1)
	v_readfirstlane_b32 s3, v0
	s_cmp_eq_u32 s3, 0
	s_cbranch_scc1 .LBB3_765
; %bb.764:                              ;   in Loop: Header=BB3_766 Depth=3
	s_sleep 1
	s_cbranch_execnz .LBB3_766
	s_branch .LBB3_768
.LBB3_765:                              ;   in Loop: Header=BB3_697 Depth=2
	s_branch .LBB3_768
.LBB3_766:                              ;   Parent Loop BB3_5 Depth=1
                                        ;     Parent Loop BB3_697 Depth=2
                                        ; =>    This Inner Loop Header: Depth=3
	v_mov_b32_e32 v0, 1
	s_and_saveexec_b32 s3, s2
	s_cbranch_execz .LBB3_763
; %bb.767:                              ;   in Loop: Header=BB3_766 Depth=3
	global_load_b32 v0, v[50:51], off offset:20 scope:SCOPE_SYS
	s_wait_loadcnt 0x0
	global_inv scope:SCOPE_SYS
	v_and_b32_e32 v0, 1, v0
	s_branch .LBB3_763
.LBB3_768:                              ;   in Loop: Header=BB3_697 Depth=2
	global_load_b64 v[18:19], v[18:19], off
	s_wait_xcnt 0x0
	s_and_saveexec_b32 s22, s2
	s_cbranch_execz .LBB3_696
; %bb.769:                              ;   in Loop: Header=BB3_697 Depth=2
	s_clause 0x2
	global_load_b64 v[20:21], v1, s[10:11] offset:40
	global_load_b64 v[28:29], v1, s[10:11] offset:24 scope:SCOPE_SYS
	global_load_b64 v[22:23], v1, s[10:11]
	s_wait_loadcnt 0x2
	v_readfirstlane_b32 s28, v20
	v_readfirstlane_b32 s29, v21
	s_add_nc_u64 s[2:3], s[28:29], 1
	s_delay_alu instid0(SALU_CYCLE_1) | instskip(NEXT) | instid1(SALU_CYCLE_1)
	s_add_nc_u64 s[20:21], s[2:3], s[20:21]
	s_cmp_eq_u64 s[20:21], 0
	s_cselect_b32 s3, s3, s21
	s_cselect_b32 s2, s2, s20
	s_delay_alu instid0(SALU_CYCLE_1) | instskip(SKIP_1) | instid1(SALU_CYCLE_1)
	v_dual_mov_b32 v27, s3 :: v_dual_mov_b32 v26, s2
	s_and_b64 s[20:21], s[2:3], s[28:29]
	s_mul_u64 s[20:21], s[20:21], 24
	s_wait_loadcnt 0x0
	v_add_nc_u64_e32 v[24:25], s[20:21], v[22:23]
	global_store_b64 v[24:25], v[28:29], off
	global_wb scope:SCOPE_SYS
	s_wait_storecnt 0x0
	s_wait_xcnt 0x0
	global_atomic_cmpswap_b64 v[22:23], v1, v[26:29], s[10:11] offset:24 th:TH_ATOMIC_RETURN scope:SCOPE_SYS
	s_wait_loadcnt 0x0
	v_cmp_ne_u64_e32 vcc_lo, v[22:23], v[28:29]
	s_and_b32 exec_lo, exec_lo, vcc_lo
	s_cbranch_execz .LBB3_696
; %bb.770:                              ;   in Loop: Header=BB3_697 Depth=2
	s_mov_b32 s20, 0
.LBB3_771:                              ;   Parent Loop BB3_5 Depth=1
                                        ;     Parent Loop BB3_697 Depth=2
                                        ; =>    This Inner Loop Header: Depth=3
	v_dual_mov_b32 v20, s2 :: v_dual_mov_b32 v21, s3
	s_sleep 1
	global_store_b64 v[24:25], v[22:23], off
	global_wb scope:SCOPE_SYS
	s_wait_storecnt 0x0
	s_wait_xcnt 0x0
	global_atomic_cmpswap_b64 v[20:21], v1, v[20:23], s[10:11] offset:24 th:TH_ATOMIC_RETURN scope:SCOPE_SYS
	s_wait_loadcnt 0x0
	v_cmp_eq_u64_e32 vcc_lo, v[20:21], v[22:23]
	v_mov_b64_e32 v[22:23], v[20:21]
	s_or_b32 s20, vcc_lo, s20
	s_delay_alu instid0(SALU_CYCLE_1)
	s_and_not1_b32 exec_lo, exec_lo, s20
	s_cbranch_execnz .LBB3_771
	s_branch .LBB3_696
.LBB3_772:                              ;   in Loop: Header=BB3_5 Depth=1
	s_branch .LBB3_829
.LBB3_773:                              ;   in Loop: Header=BB3_5 Depth=1
                                        ; implicit-def: $vgpr16_vgpr17
	s_cbranch_execz .LBB3_694
; %bb.774:                              ;   in Loop: Header=BB3_5 Depth=1
	v_readfirstlane_b32 s2, v40
	v_mov_b64_e32 v[6:7], 0
	s_delay_alu instid0(VALU_DEP_2)
	v_cmp_eq_u32_e64 s2, s2, v40
	s_and_saveexec_b32 s3, s2
	s_cbranch_execz .LBB3_780
; %bb.775:                              ;   in Loop: Header=BB3_5 Depth=1
	global_load_b64 v[18:19], v1, s[10:11] offset:24 scope:SCOPE_SYS
	s_wait_loadcnt 0x0
	global_inv scope:SCOPE_SYS
	s_clause 0x1
	global_load_b64 v[6:7], v1, s[10:11] offset:40
	global_load_b64 v[16:17], v1, s[10:11]
	s_mov_b32 s14, exec_lo
	s_wait_loadcnt 0x1
	v_and_b32_e32 v6, v6, v18
	v_and_b32_e32 v7, v7, v19
	s_delay_alu instid0(VALU_DEP_1) | instskip(SKIP_1) | instid1(VALU_DEP_1)
	v_mul_u64_e32 v[6:7], 24, v[6:7]
	s_wait_loadcnt 0x0
	v_add_nc_u64_e32 v[6:7], v[16:17], v[6:7]
	global_load_b64 v[16:17], v[6:7], off scope:SCOPE_SYS
	s_wait_xcnt 0x0
	s_wait_loadcnt 0x0
	global_atomic_cmpswap_b64 v[6:7], v1, v[16:19], s[10:11] offset:24 th:TH_ATOMIC_RETURN scope:SCOPE_SYS
	s_wait_loadcnt 0x0
	global_inv scope:SCOPE_SYS
	s_wait_xcnt 0x0
	v_cmpx_ne_u64_e64 v[6:7], v[18:19]
	s_cbranch_execz .LBB3_779
; %bb.776:                              ;   in Loop: Header=BB3_5 Depth=1
	s_mov_b32 s15, 0
.LBB3_777:                              ;   Parent Loop BB3_5 Depth=1
                                        ; =>  This Inner Loop Header: Depth=2
	s_sleep 1
	s_clause 0x1
	global_load_b64 v[16:17], v1, s[10:11] offset:40
	global_load_b64 v[22:23], v1, s[10:11]
	v_mov_b64_e32 v[18:19], v[6:7]
	s_wait_loadcnt 0x1
	s_delay_alu instid0(VALU_DEP_1) | instskip(SKIP_1) | instid1(VALU_DEP_1)
	v_and_b32_e32 v0, v16, v18
	s_wait_loadcnt 0x0
	v_mad_nc_u64_u32 v[6:7], v0, 24, v[22:23]
	s_delay_alu instid0(VALU_DEP_3) | instskip(NEXT) | instid1(VALU_DEP_1)
	v_and_b32_e32 v0, v17, v19
	v_mad_u32 v7, v0, 24, v7
	global_load_b64 v[16:17], v[6:7], off scope:SCOPE_SYS
	s_wait_xcnt 0x0
	s_wait_loadcnt 0x0
	global_atomic_cmpswap_b64 v[6:7], v1, v[16:19], s[10:11] offset:24 th:TH_ATOMIC_RETURN scope:SCOPE_SYS
	s_wait_loadcnt 0x0
	global_inv scope:SCOPE_SYS
	v_cmp_eq_u64_e32 vcc_lo, v[6:7], v[18:19]
	s_or_b32 s15, vcc_lo, s15
	s_wait_xcnt 0x0
	s_and_not1_b32 exec_lo, exec_lo, s15
	s_cbranch_execnz .LBB3_777
; %bb.778:                              ;   in Loop: Header=BB3_5 Depth=1
	s_or_b32 exec_lo, exec_lo, s15
.LBB3_779:                              ;   in Loop: Header=BB3_5 Depth=1
	s_delay_alu instid0(SALU_CYCLE_1)
	s_or_b32 exec_lo, exec_lo, s14
.LBB3_780:                              ;   in Loop: Header=BB3_5 Depth=1
	s_delay_alu instid0(SALU_CYCLE_1)
	s_or_b32 exec_lo, exec_lo, s3
	global_load_b64 v[22:23], v1, s[10:11] offset:40
	s_wait_loadcnt 0x1
	global_load_b128 v[16:19], v1, s[10:11]
	v_readfirstlane_b32 s14, v6
	v_readfirstlane_b32 s15, v7
	s_mov_b32 s3, exec_lo
	s_wait_loadcnt 0x1
	v_and_b32_e32 v22, s14, v22
	v_and_b32_e32 v23, s15, v23
	s_delay_alu instid0(VALU_DEP_1) | instskip(SKIP_1) | instid1(VALU_DEP_1)
	v_mul_u64_e32 v[6:7], 24, v[22:23]
	s_wait_loadcnt 0x0
	v_add_nc_u64_e32 v[6:7], v[16:17], v[6:7]
	s_wait_xcnt 0x0
	s_and_saveexec_b32 s16, s2
	s_cbranch_execz .LBB3_782
; %bb.781:                              ;   in Loop: Header=BB3_5 Depth=1
	v_mov_b32_e32 v0, s3
	global_store_b128 v[6:7], v[0:3], off offset:8
.LBB3_782:                              ;   in Loop: Header=BB3_5 Depth=1
	s_wait_xcnt 0x0
	s_or_b32 exec_lo, exec_lo, s16
	v_lshlrev_b64_e32 v[22:23], 12, v[22:23]
	v_mov_b64_e32 v[28:29], s[6:7]
	v_mov_b64_e32 v[26:27], s[4:5]
	v_and_or_b32 v20, 0xffffff1f, v20, 32
	s_delay_alu instid0(VALU_DEP_4) | instskip(SKIP_1) | instid1(VALU_DEP_2)
	v_add_nc_u64_e32 v[24:25], v[18:19], v[22:23]
	v_dual_mov_b32 v22, v1 :: v_dual_mov_b32 v23, v1
	v_readfirstlane_b32 s16, v24
	s_delay_alu instid0(VALU_DEP_3)
	v_readfirstlane_b32 s17, v25
	s_clause 0x3
	global_store_b128 v42, v[20:23], s[16:17]
	global_store_b128 v42, v[26:29], s[16:17] offset:16
	global_store_b128 v42, v[26:29], s[16:17] offset:32
	;; [unrolled: 1-line block ×3, first 2 shown]
	s_wait_xcnt 0x0
	s_and_saveexec_b32 s3, s2
	s_cbranch_execz .LBB3_790
; %bb.783:                              ;   in Loop: Header=BB3_5 Depth=1
	s_clause 0x1
	global_load_b64 v[28:29], v1, s[10:11] offset:32 scope:SCOPE_SYS
	global_load_b64 v[18:19], v1, s[10:11] offset:40
	s_mov_b32 s16, exec_lo
	v_dual_mov_b32 v26, s14 :: v_dual_mov_b32 v27, s15
	s_wait_loadcnt 0x0
	v_and_b32_e32 v19, s15, v19
	v_and_b32_e32 v18, s14, v18
	s_delay_alu instid0(VALU_DEP_1) | instskip(NEXT) | instid1(VALU_DEP_1)
	v_mul_u64_e32 v[18:19], 24, v[18:19]
	v_add_nc_u64_e32 v[20:21], v[16:17], v[18:19]
	global_store_b64 v[20:21], v[28:29], off
	global_wb scope:SCOPE_SYS
	s_wait_storecnt 0x0
	s_wait_xcnt 0x0
	global_atomic_cmpswap_b64 v[18:19], v1, v[26:29], s[10:11] offset:32 th:TH_ATOMIC_RETURN scope:SCOPE_SYS
	s_wait_loadcnt 0x0
	s_wait_xcnt 0x0
	v_cmpx_ne_u64_e64 v[18:19], v[28:29]
	s_cbranch_execz .LBB3_786
; %bb.784:                              ;   in Loop: Header=BB3_5 Depth=1
	s_mov_b32 s17, 0
.LBB3_785:                              ;   Parent Loop BB3_5 Depth=1
                                        ; =>  This Inner Loop Header: Depth=2
	v_dual_mov_b32 v16, s14 :: v_dual_mov_b32 v17, s15
	s_sleep 1
	global_store_b64 v[20:21], v[18:19], off
	global_wb scope:SCOPE_SYS
	s_wait_storecnt 0x0
	s_wait_xcnt 0x0
	global_atomic_cmpswap_b64 v[16:17], v1, v[16:19], s[10:11] offset:32 th:TH_ATOMIC_RETURN scope:SCOPE_SYS
	s_wait_loadcnt 0x0
	v_cmp_eq_u64_e32 vcc_lo, v[16:17], v[18:19]
	s_wait_xcnt 0x0
	v_mov_b64_e32 v[18:19], v[16:17]
	s_or_b32 s17, vcc_lo, s17
	s_delay_alu instid0(SALU_CYCLE_1)
	s_and_not1_b32 exec_lo, exec_lo, s17
	s_cbranch_execnz .LBB3_785
.LBB3_786:                              ;   in Loop: Header=BB3_5 Depth=1
	s_or_b32 exec_lo, exec_lo, s16
	global_load_b64 v[16:17], v1, s[10:11] offset:16
	s_mov_b32 s17, exec_lo
	s_mov_b32 s16, exec_lo
	v_mbcnt_lo_u32_b32 v0, s17, 0
	s_wait_xcnt 0x0
	s_delay_alu instid0(VALU_DEP_1)
	v_cmpx_eq_u32_e32 0, v0
	s_cbranch_execz .LBB3_788
; %bb.787:                              ;   in Loop: Header=BB3_5 Depth=1
	s_bcnt1_i32_b32 s17, s17
	s_delay_alu instid0(SALU_CYCLE_1)
	v_mov_b32_e32 v0, s17
	global_wb scope:SCOPE_SYS
	s_wait_loadcnt 0x0
	s_wait_storecnt 0x0
	global_atomic_add_u64 v[16:17], v[0:1], off offset:8 scope:SCOPE_SYS
.LBB3_788:                              ;   in Loop: Header=BB3_5 Depth=1
	s_wait_xcnt 0x0
	s_or_b32 exec_lo, exec_lo, s16
	s_wait_loadcnt 0x0
	global_load_b64 v[18:19], v[16:17], off offset:16
	s_wait_loadcnt 0x0
	v_cmp_eq_u64_e32 vcc_lo, 0, v[18:19]
	s_cbranch_vccnz .LBB3_790
; %bb.789:                              ;   in Loop: Header=BB3_5 Depth=1
	global_load_b32 v0, v[16:17], off offset:24
	s_wait_loadcnt 0x0
	v_readfirstlane_b32 s16, v0
	global_wb scope:SCOPE_SYS
	s_wait_storecnt 0x0
	s_wait_xcnt 0x0
	global_store_b64 v[18:19], v[0:1], off scope:SCOPE_SYS
	s_and_b32 m0, s16, 0xffffff
	s_sendmsg sendmsg(MSG_INTERRUPT)
.LBB3_790:                              ;   in Loop: Header=BB3_5 Depth=1
	s_wait_xcnt 0x0
	s_or_b32 exec_lo, exec_lo, s3
	v_mov_b32_e32 v43, v1
	s_delay_alu instid0(VALU_DEP_1)
	v_add_nc_u64_e32 v[16:17], v[24:25], v[42:43]
	s_branch .LBB3_794
.LBB3_791:                              ;   in Loop: Header=BB3_794 Depth=2
	s_wait_xcnt 0x0
	s_or_b32 exec_lo, exec_lo, s3
	s_delay_alu instid0(VALU_DEP_1)
	v_readfirstlane_b32 s3, v0
	s_cmp_eq_u32 s3, 0
	s_cbranch_scc1 .LBB3_793
; %bb.792:                              ;   in Loop: Header=BB3_794 Depth=2
	s_sleep 1
	s_cbranch_execnz .LBB3_794
	s_branch .LBB3_796
.LBB3_793:                              ;   in Loop: Header=BB3_5 Depth=1
	s_branch .LBB3_796
.LBB3_794:                              ;   Parent Loop BB3_5 Depth=1
                                        ; =>  This Inner Loop Header: Depth=2
	v_mov_b32_e32 v0, 1
	s_and_saveexec_b32 s3, s2
	s_cbranch_execz .LBB3_791
; %bb.795:                              ;   in Loop: Header=BB3_794 Depth=2
	global_load_b32 v0, v[6:7], off offset:20 scope:SCOPE_SYS
	s_wait_loadcnt 0x0
	global_inv scope:SCOPE_SYS
	v_and_b32_e32 v0, 1, v0
	s_branch .LBB3_791
.LBB3_796:                              ;   in Loop: Header=BB3_5 Depth=1
	global_load_b64 v[16:17], v[16:17], off
	s_wait_xcnt 0x0
	s_and_saveexec_b32 s16, s2
	s_cbranch_execz .LBB3_800
; %bb.797:                              ;   in Loop: Header=BB3_5 Depth=1
	s_clause 0x2
	global_load_b64 v[6:7], v1, s[10:11] offset:40
	global_load_b64 v[22:23], v1, s[10:11] offset:24 scope:SCOPE_SYS
	global_load_b64 v[18:19], v1, s[10:11]
	s_wait_loadcnt 0x2
	v_readfirstlane_b32 s18, v6
	v_readfirstlane_b32 s19, v7
	s_add_nc_u64 s[2:3], s[18:19], 1
	s_delay_alu instid0(SALU_CYCLE_1) | instskip(NEXT) | instid1(SALU_CYCLE_1)
	s_add_nc_u64 s[14:15], s[2:3], s[14:15]
	s_cmp_eq_u64 s[14:15], 0
	s_cselect_b32 s3, s3, s15
	s_cselect_b32 s2, s2, s14
	s_delay_alu instid0(SALU_CYCLE_1) | instskip(SKIP_1) | instid1(SALU_CYCLE_1)
	v_dual_mov_b32 v21, s3 :: v_dual_mov_b32 v20, s2
	s_and_b64 s[14:15], s[2:3], s[18:19]
	s_mul_u64 s[14:15], s[14:15], 24
	s_wait_loadcnt 0x0
	v_add_nc_u64_e32 v[6:7], s[14:15], v[18:19]
	global_store_b64 v[6:7], v[22:23], off
	global_wb scope:SCOPE_SYS
	s_wait_storecnt 0x0
	s_wait_xcnt 0x0
	global_atomic_cmpswap_b64 v[20:21], v1, v[20:23], s[10:11] offset:24 th:TH_ATOMIC_RETURN scope:SCOPE_SYS
	s_wait_loadcnt 0x0
	v_cmp_ne_u64_e32 vcc_lo, v[20:21], v[22:23]
	s_wait_xcnt 0x0
	s_and_b32 exec_lo, exec_lo, vcc_lo
	s_cbranch_execz .LBB3_800
; %bb.798:                              ;   in Loop: Header=BB3_5 Depth=1
	s_mov_b32 s14, 0
.LBB3_799:                              ;   Parent Loop BB3_5 Depth=1
                                        ; =>  This Inner Loop Header: Depth=2
	v_dual_mov_b32 v18, s2 :: v_dual_mov_b32 v19, s3
	s_sleep 1
	global_store_b64 v[6:7], v[20:21], off
	global_wb scope:SCOPE_SYS
	s_wait_storecnt 0x0
	s_wait_xcnt 0x0
	global_atomic_cmpswap_b64 v[18:19], v1, v[18:21], s[10:11] offset:24 th:TH_ATOMIC_RETURN scope:SCOPE_SYS
	s_wait_loadcnt 0x0
	v_cmp_eq_u64_e32 vcc_lo, v[18:19], v[20:21]
	s_wait_xcnt 0x0
	v_mov_b64_e32 v[20:21], v[18:19]
	s_or_b32 s14, vcc_lo, s14
	s_delay_alu instid0(SALU_CYCLE_1)
	s_and_not1_b32 exec_lo, exec_lo, s14
	s_cbranch_execnz .LBB3_799
.LBB3_800:                              ;   in Loop: Header=BB3_5 Depth=1
	s_or_b32 exec_lo, exec_lo, s16
	s_delay_alu instid0(SALU_CYCLE_1)
	s_and_b32 vcc_lo, exec_lo, s26
	s_cbranch_vccnz .LBB3_695
.LBB3_801:                              ;   in Loop: Header=BB3_5 Depth=1
                                        ; implicit-def: $vgpr18_vgpr19
	s_cbranch_execz .LBB3_829
; %bb.802:                              ;   in Loop: Header=BB3_5 Depth=1
	v_readfirstlane_b32 s2, v40
	v_mov_b64_e32 v[6:7], 0
	s_delay_alu instid0(VALU_DEP_2)
	v_cmp_eq_u32_e64 s2, s2, v40
	s_and_saveexec_b32 s3, s2
	s_cbranch_execz .LBB3_808
; %bb.803:                              ;   in Loop: Header=BB3_5 Depth=1
	s_wait_loadcnt 0x0
	global_load_b64 v[20:21], v1, s[10:11] offset:24 scope:SCOPE_SYS
	s_wait_loadcnt 0x0
	global_inv scope:SCOPE_SYS
	s_clause 0x1
	global_load_b64 v[6:7], v1, s[10:11] offset:40
	global_load_b64 v[18:19], v1, s[10:11]
	s_mov_b32 s14, exec_lo
	s_wait_loadcnt 0x1
	v_and_b32_e32 v6, v6, v20
	v_and_b32_e32 v7, v7, v21
	s_delay_alu instid0(VALU_DEP_1) | instskip(SKIP_1) | instid1(VALU_DEP_1)
	v_mul_u64_e32 v[6:7], 24, v[6:7]
	s_wait_loadcnt 0x0
	v_add_nc_u64_e32 v[6:7], v[18:19], v[6:7]
	global_load_b64 v[18:19], v[6:7], off scope:SCOPE_SYS
	s_wait_xcnt 0x0
	s_wait_loadcnt 0x0
	global_atomic_cmpswap_b64 v[6:7], v1, v[18:21], s[10:11] offset:24 th:TH_ATOMIC_RETURN scope:SCOPE_SYS
	s_wait_loadcnt 0x0
	global_inv scope:SCOPE_SYS
	s_wait_xcnt 0x0
	v_cmpx_ne_u64_e64 v[6:7], v[20:21]
	s_cbranch_execz .LBB3_807
; %bb.804:                              ;   in Loop: Header=BB3_5 Depth=1
	s_mov_b32 s15, 0
.LBB3_805:                              ;   Parent Loop BB3_5 Depth=1
                                        ; =>  This Inner Loop Header: Depth=2
	s_sleep 1
	s_clause 0x1
	global_load_b64 v[18:19], v1, s[10:11] offset:40
	global_load_b64 v[22:23], v1, s[10:11]
	v_mov_b64_e32 v[20:21], v[6:7]
	s_wait_loadcnt 0x1
	s_delay_alu instid0(VALU_DEP_1) | instskip(SKIP_1) | instid1(VALU_DEP_1)
	v_and_b32_e32 v0, v18, v20
	s_wait_loadcnt 0x0
	v_mad_nc_u64_u32 v[6:7], v0, 24, v[22:23]
	s_delay_alu instid0(VALU_DEP_3) | instskip(NEXT) | instid1(VALU_DEP_1)
	v_and_b32_e32 v0, v19, v21
	v_mad_u32 v7, v0, 24, v7
	global_load_b64 v[18:19], v[6:7], off scope:SCOPE_SYS
	s_wait_xcnt 0x0
	s_wait_loadcnt 0x0
	global_atomic_cmpswap_b64 v[6:7], v1, v[18:21], s[10:11] offset:24 th:TH_ATOMIC_RETURN scope:SCOPE_SYS
	s_wait_loadcnt 0x0
	global_inv scope:SCOPE_SYS
	v_cmp_eq_u64_e32 vcc_lo, v[6:7], v[20:21]
	s_or_b32 s15, vcc_lo, s15
	s_wait_xcnt 0x0
	s_and_not1_b32 exec_lo, exec_lo, s15
	s_cbranch_execnz .LBB3_805
; %bb.806:                              ;   in Loop: Header=BB3_5 Depth=1
	s_or_b32 exec_lo, exec_lo, s15
.LBB3_807:                              ;   in Loop: Header=BB3_5 Depth=1
	s_delay_alu instid0(SALU_CYCLE_1)
	s_or_b32 exec_lo, exec_lo, s14
.LBB3_808:                              ;   in Loop: Header=BB3_5 Depth=1
	s_delay_alu instid0(SALU_CYCLE_1)
	s_or_b32 exec_lo, exec_lo, s3
	s_wait_loadcnt 0x0
	s_clause 0x1
	global_load_b64 v[18:19], v1, s[10:11] offset:40
	global_load_b128 v[20:23], v1, s[10:11]
	v_readfirstlane_b32 s14, v6
	v_readfirstlane_b32 s15, v7
	s_mov_b32 s3, exec_lo
	s_wait_loadcnt 0x1
	v_and_b32_e32 v18, s14, v18
	v_and_b32_e32 v19, s15, v19
	s_delay_alu instid0(VALU_DEP_1) | instskip(SKIP_1) | instid1(VALU_DEP_1)
	v_mul_u64_e32 v[6:7], 24, v[18:19]
	s_wait_loadcnt 0x0
	v_add_nc_u64_e32 v[6:7], v[20:21], v[6:7]
	s_wait_xcnt 0x0
	s_and_saveexec_b32 s16, s2
	s_cbranch_execz .LBB3_810
; %bb.809:                              ;   in Loop: Header=BB3_5 Depth=1
	v_mov_b32_e32 v0, s3
	global_store_b128 v[6:7], v[0:3], off offset:8
.LBB3_810:                              ;   in Loop: Header=BB3_5 Depth=1
	s_wait_xcnt 0x0
	s_or_b32 exec_lo, exec_lo, s16
	v_lshlrev_b64_e32 v[18:19], 12, v[18:19]
	v_mov_b64_e32 v[26:27], s[6:7]
	v_mov_b64_e32 v[24:25], s[4:5]
	v_and_or_b32 v16, 0xffffff1f, v16, 32
	s_delay_alu instid0(VALU_DEP_4) | instskip(SKIP_1) | instid1(VALU_DEP_2)
	v_add_nc_u64_e32 v[22:23], v[22:23], v[18:19]
	v_dual_mov_b32 v18, v1 :: v_dual_mov_b32 v19, v1
	v_readfirstlane_b32 s16, v22
	s_delay_alu instid0(VALU_DEP_3)
	v_readfirstlane_b32 s17, v23
	s_clause 0x3
	global_store_b128 v42, v[16:19], s[16:17]
	global_store_b128 v42, v[24:27], s[16:17] offset:16
	global_store_b128 v42, v[24:27], s[16:17] offset:32
	;; [unrolled: 1-line block ×3, first 2 shown]
	s_wait_xcnt 0x0
	s_and_saveexec_b32 s3, s2
	s_cbranch_execz .LBB3_818
; %bb.811:                              ;   in Loop: Header=BB3_5 Depth=1
	s_clause 0x1
	global_load_b64 v[26:27], v1, s[10:11] offset:32 scope:SCOPE_SYS
	global_load_b64 v[16:17], v1, s[10:11] offset:40
	s_mov_b32 s16, exec_lo
	v_dual_mov_b32 v24, s14 :: v_dual_mov_b32 v25, s15
	s_wait_loadcnt 0x0
	v_and_b32_e32 v17, s15, v17
	v_and_b32_e32 v16, s14, v16
	s_delay_alu instid0(VALU_DEP_1) | instskip(NEXT) | instid1(VALU_DEP_1)
	v_mul_u64_e32 v[16:17], 24, v[16:17]
	v_add_nc_u64_e32 v[20:21], v[20:21], v[16:17]
	global_store_b64 v[20:21], v[26:27], off
	global_wb scope:SCOPE_SYS
	s_wait_storecnt 0x0
	s_wait_xcnt 0x0
	global_atomic_cmpswap_b64 v[18:19], v1, v[24:27], s[10:11] offset:32 th:TH_ATOMIC_RETURN scope:SCOPE_SYS
	s_wait_loadcnt 0x0
	s_wait_xcnt 0x0
	v_cmpx_ne_u64_e64 v[18:19], v[26:27]
	s_cbranch_execz .LBB3_814
; %bb.812:                              ;   in Loop: Header=BB3_5 Depth=1
	s_mov_b32 s17, 0
.LBB3_813:                              ;   Parent Loop BB3_5 Depth=1
                                        ; =>  This Inner Loop Header: Depth=2
	v_dual_mov_b32 v16, s14 :: v_dual_mov_b32 v17, s15
	s_sleep 1
	global_store_b64 v[20:21], v[18:19], off
	global_wb scope:SCOPE_SYS
	s_wait_storecnt 0x0
	s_wait_xcnt 0x0
	global_atomic_cmpswap_b64 v[16:17], v1, v[16:19], s[10:11] offset:32 th:TH_ATOMIC_RETURN scope:SCOPE_SYS
	s_wait_loadcnt 0x0
	v_cmp_eq_u64_e32 vcc_lo, v[16:17], v[18:19]
	s_wait_xcnt 0x0
	v_mov_b64_e32 v[18:19], v[16:17]
	s_or_b32 s17, vcc_lo, s17
	s_delay_alu instid0(SALU_CYCLE_1)
	s_and_not1_b32 exec_lo, exec_lo, s17
	s_cbranch_execnz .LBB3_813
.LBB3_814:                              ;   in Loop: Header=BB3_5 Depth=1
	s_or_b32 exec_lo, exec_lo, s16
	global_load_b64 v[16:17], v1, s[10:11] offset:16
	s_mov_b32 s17, exec_lo
	s_mov_b32 s16, exec_lo
	v_mbcnt_lo_u32_b32 v0, s17, 0
	s_wait_xcnt 0x0
	s_delay_alu instid0(VALU_DEP_1)
	v_cmpx_eq_u32_e32 0, v0
	s_cbranch_execz .LBB3_816
; %bb.815:                              ;   in Loop: Header=BB3_5 Depth=1
	s_bcnt1_i32_b32 s17, s17
	s_delay_alu instid0(SALU_CYCLE_1)
	v_mov_b32_e32 v0, s17
	global_wb scope:SCOPE_SYS
	s_wait_loadcnt 0x0
	s_wait_storecnt 0x0
	global_atomic_add_u64 v[16:17], v[0:1], off offset:8 scope:SCOPE_SYS
.LBB3_816:                              ;   in Loop: Header=BB3_5 Depth=1
	s_wait_xcnt 0x0
	s_or_b32 exec_lo, exec_lo, s16
	s_wait_loadcnt 0x0
	global_load_b64 v[18:19], v[16:17], off offset:16
	s_wait_loadcnt 0x0
	v_cmp_eq_u64_e32 vcc_lo, 0, v[18:19]
	s_cbranch_vccnz .LBB3_818
; %bb.817:                              ;   in Loop: Header=BB3_5 Depth=1
	global_load_b32 v0, v[16:17], off offset:24
	s_wait_loadcnt 0x0
	v_readfirstlane_b32 s16, v0
	global_wb scope:SCOPE_SYS
	s_wait_storecnt 0x0
	s_wait_xcnt 0x0
	global_store_b64 v[18:19], v[0:1], off scope:SCOPE_SYS
	s_and_b32 m0, s16, 0xffffff
	s_sendmsg sendmsg(MSG_INTERRUPT)
.LBB3_818:                              ;   in Loop: Header=BB3_5 Depth=1
	s_wait_xcnt 0x0
	s_or_b32 exec_lo, exec_lo, s3
	v_mov_b32_e32 v43, v1
	s_delay_alu instid0(VALU_DEP_1)
	v_add_nc_u64_e32 v[16:17], v[22:23], v[42:43]
	s_branch .LBB3_822
.LBB3_819:                              ;   in Loop: Header=BB3_822 Depth=2
	s_wait_xcnt 0x0
	s_or_b32 exec_lo, exec_lo, s3
	s_delay_alu instid0(VALU_DEP_1)
	v_readfirstlane_b32 s3, v0
	s_cmp_eq_u32 s3, 0
	s_cbranch_scc1 .LBB3_821
; %bb.820:                              ;   in Loop: Header=BB3_822 Depth=2
	s_sleep 1
	s_cbranch_execnz .LBB3_822
	s_branch .LBB3_824
.LBB3_821:                              ;   in Loop: Header=BB3_5 Depth=1
	s_branch .LBB3_824
.LBB3_822:                              ;   Parent Loop BB3_5 Depth=1
                                        ; =>  This Inner Loop Header: Depth=2
	v_mov_b32_e32 v0, 1
	s_and_saveexec_b32 s3, s2
	s_cbranch_execz .LBB3_819
; %bb.823:                              ;   in Loop: Header=BB3_822 Depth=2
	global_load_b32 v0, v[6:7], off offset:20 scope:SCOPE_SYS
	s_wait_loadcnt 0x0
	global_inv scope:SCOPE_SYS
	v_and_b32_e32 v0, 1, v0
	s_branch .LBB3_819
.LBB3_824:                              ;   in Loop: Header=BB3_5 Depth=1
	global_load_b64 v[18:19], v[16:17], off
	s_wait_xcnt 0x0
	s_and_saveexec_b32 s16, s2
	s_cbranch_execz .LBB3_828
; %bb.825:                              ;   in Loop: Header=BB3_5 Depth=1
	s_clause 0x2
	global_load_b64 v[6:7], v1, s[10:11] offset:40
	global_load_b64 v[24:25], v1, s[10:11] offset:24 scope:SCOPE_SYS
	global_load_b64 v[16:17], v1, s[10:11]
	s_wait_loadcnt 0x2
	v_readfirstlane_b32 s18, v6
	v_readfirstlane_b32 s19, v7
	s_add_nc_u64 s[2:3], s[18:19], 1
	s_delay_alu instid0(SALU_CYCLE_1) | instskip(NEXT) | instid1(SALU_CYCLE_1)
	s_add_nc_u64 s[14:15], s[2:3], s[14:15]
	s_cmp_eq_u64 s[14:15], 0
	s_cselect_b32 s3, s3, s15
	s_cselect_b32 s2, s2, s14
	s_delay_alu instid0(SALU_CYCLE_1) | instskip(SKIP_1) | instid1(SALU_CYCLE_1)
	v_dual_mov_b32 v23, s3 :: v_dual_mov_b32 v22, s2
	s_and_b64 s[14:15], s[2:3], s[18:19]
	s_mul_u64 s[14:15], s[14:15], 24
	s_wait_loadcnt 0x0
	v_add_nc_u64_e32 v[6:7], s[14:15], v[16:17]
	global_store_b64 v[6:7], v[24:25], off
	global_wb scope:SCOPE_SYS
	s_wait_storecnt 0x0
	s_wait_xcnt 0x0
	global_atomic_cmpswap_b64 v[22:23], v1, v[22:25], s[10:11] offset:24 th:TH_ATOMIC_RETURN scope:SCOPE_SYS
	s_wait_loadcnt 0x0
	v_cmp_ne_u64_e32 vcc_lo, v[22:23], v[24:25]
	s_wait_xcnt 0x0
	s_and_b32 exec_lo, exec_lo, vcc_lo
	s_cbranch_execz .LBB3_828
; %bb.826:                              ;   in Loop: Header=BB3_5 Depth=1
	s_mov_b32 s14, 0
.LBB3_827:                              ;   Parent Loop BB3_5 Depth=1
                                        ; =>  This Inner Loop Header: Depth=2
	v_dual_mov_b32 v20, s2 :: v_dual_mov_b32 v21, s3
	s_sleep 1
	global_store_b64 v[6:7], v[22:23], off
	global_wb scope:SCOPE_SYS
	s_wait_storecnt 0x0
	s_wait_xcnt 0x0
	global_atomic_cmpswap_b64 v[16:17], v1, v[20:23], s[10:11] offset:24 th:TH_ATOMIC_RETURN scope:SCOPE_SYS
	s_wait_loadcnt 0x0
	v_cmp_eq_u64_e32 vcc_lo, v[16:17], v[22:23]
	s_wait_xcnt 0x0
	v_mov_b64_e32 v[22:23], v[16:17]
	s_or_b32 s14, vcc_lo, s14
	s_delay_alu instid0(SALU_CYCLE_1)
	s_and_not1_b32 exec_lo, exec_lo, s14
	s_cbranch_execnz .LBB3_827
.LBB3_828:                              ;   in Loop: Header=BB3_5 Depth=1
	s_or_b32 exec_lo, exec_lo, s16
.LBB3_829:                              ;   in Loop: Header=BB3_5 Depth=1
	v_readfirstlane_b32 s2, v40
	v_mov_b64_e32 v[6:7], 0
	s_delay_alu instid0(VALU_DEP_2)
	v_cmp_eq_u32_e64 s2, s2, v40
	s_and_saveexec_b32 s3, s2
	s_cbranch_execz .LBB3_835
; %bb.830:                              ;   in Loop: Header=BB3_5 Depth=1
	global_load_b64 v[22:23], v1, s[10:11] offset:24 scope:SCOPE_SYS
	s_wait_loadcnt 0x0
	global_inv scope:SCOPE_SYS
	s_clause 0x1
	global_load_b64 v[6:7], v1, s[10:11] offset:40
	global_load_b64 v[16:17], v1, s[10:11]
	s_mov_b32 s14, exec_lo
	s_wait_loadcnt 0x1
	v_and_b32_e32 v6, v6, v22
	v_and_b32_e32 v7, v7, v23
	s_delay_alu instid0(VALU_DEP_1) | instskip(SKIP_1) | instid1(VALU_DEP_1)
	v_mul_u64_e32 v[6:7], 24, v[6:7]
	s_wait_loadcnt 0x0
	v_add_nc_u64_e32 v[6:7], v[16:17], v[6:7]
	global_load_b64 v[20:21], v[6:7], off scope:SCOPE_SYS
	s_wait_xcnt 0x0
	s_wait_loadcnt 0x0
	global_atomic_cmpswap_b64 v[6:7], v1, v[20:23], s[10:11] offset:24 th:TH_ATOMIC_RETURN scope:SCOPE_SYS
	s_wait_loadcnt 0x0
	global_inv scope:SCOPE_SYS
	s_wait_xcnt 0x0
	v_cmpx_ne_u64_e64 v[6:7], v[22:23]
	s_cbranch_execz .LBB3_834
; %bb.831:                              ;   in Loop: Header=BB3_5 Depth=1
	s_mov_b32 s15, 0
.LBB3_832:                              ;   Parent Loop BB3_5 Depth=1
                                        ; =>  This Inner Loop Header: Depth=2
	s_sleep 1
	s_clause 0x1
	global_load_b64 v[16:17], v1, s[10:11] offset:40
	global_load_b64 v[20:21], v1, s[10:11]
	v_mov_b64_e32 v[22:23], v[6:7]
	s_wait_loadcnt 0x1
	s_delay_alu instid0(VALU_DEP_1) | instskip(SKIP_1) | instid1(VALU_DEP_1)
	v_and_b32_e32 v0, v16, v22
	s_wait_loadcnt 0x0
	v_mad_nc_u64_u32 v[6:7], v0, 24, v[20:21]
	s_delay_alu instid0(VALU_DEP_3) | instskip(NEXT) | instid1(VALU_DEP_1)
	v_and_b32_e32 v0, v17, v23
	v_mad_u32 v7, v0, 24, v7
	global_load_b64 v[20:21], v[6:7], off scope:SCOPE_SYS
	s_wait_xcnt 0x0
	s_wait_loadcnt 0x0
	global_atomic_cmpswap_b64 v[6:7], v1, v[20:23], s[10:11] offset:24 th:TH_ATOMIC_RETURN scope:SCOPE_SYS
	s_wait_loadcnt 0x0
	global_inv scope:SCOPE_SYS
	v_cmp_eq_u64_e32 vcc_lo, v[6:7], v[22:23]
	s_or_b32 s15, vcc_lo, s15
	s_wait_xcnt 0x0
	s_and_not1_b32 exec_lo, exec_lo, s15
	s_cbranch_execnz .LBB3_832
; %bb.833:                              ;   in Loop: Header=BB3_5 Depth=1
	s_or_b32 exec_lo, exec_lo, s15
.LBB3_834:                              ;   in Loop: Header=BB3_5 Depth=1
	s_delay_alu instid0(SALU_CYCLE_1)
	s_or_b32 exec_lo, exec_lo, s14
.LBB3_835:                              ;   in Loop: Header=BB3_5 Depth=1
	s_delay_alu instid0(SALU_CYCLE_1)
	s_or_b32 exec_lo, exec_lo, s3
	s_wait_loadcnt 0x0
	s_clause 0x1
	global_load_b64 v[16:17], v1, s[10:11] offset:40
	global_load_b128 v[22:25], v1, s[10:11]
	v_readfirstlane_b32 s14, v6
	v_readfirstlane_b32 s15, v7
	s_mov_b32 s3, exec_lo
	s_wait_loadcnt 0x1
	v_and_b32_e32 v16, s14, v16
	v_and_b32_e32 v17, s15, v17
	s_delay_alu instid0(VALU_DEP_1) | instskip(SKIP_1) | instid1(VALU_DEP_1)
	v_mul_u64_e32 v[6:7], 24, v[16:17]
	s_wait_loadcnt 0x0
	v_add_nc_u64_e32 v[6:7], v[22:23], v[6:7]
	s_wait_xcnt 0x0
	s_and_saveexec_b32 s16, s2
	s_cbranch_execz .LBB3_837
; %bb.836:                              ;   in Loop: Header=BB3_5 Depth=1
	v_mov_b32_e32 v0, s3
	global_store_b128 v[6:7], v[0:3], off offset:8
.LBB3_837:                              ;   in Loop: Header=BB3_5 Depth=1
	s_wait_xcnt 0x0
	s_or_b32 exec_lo, exec_lo, s16
	v_lshlrev_b64_e32 v[16:17], 12, v[16:17]
	v_mov_b64_e32 v[28:29], s[6:7]
	v_mov_b64_e32 v[26:27], s[4:5]
	v_and_or_b32 v18, 0xffffff1f, v18, 32
	v_dual_mov_b32 v20, v38 :: v_dual_mov_b32 v21, v39
	v_add_nc_u64_e32 v[24:25], v[24:25], v[16:17]
	s_delay_alu instid0(VALU_DEP_1) | instskip(NEXT) | instid1(VALU_DEP_2)
	v_readfirstlane_b32 s16, v24
	v_readfirstlane_b32 s17, v25
	s_clause 0x3
	global_store_b128 v42, v[18:21], s[16:17]
	global_store_b128 v42, v[26:29], s[16:17] offset:16
	global_store_b128 v42, v[26:29], s[16:17] offset:32
	;; [unrolled: 1-line block ×3, first 2 shown]
	s_wait_xcnt 0x0
	s_and_saveexec_b32 s3, s2
	s_cbranch_execz .LBB3_845
; %bb.838:                              ;   in Loop: Header=BB3_5 Depth=1
	s_clause 0x1
	global_load_b64 v[28:29], v1, s[10:11] offset:32 scope:SCOPE_SYS
	global_load_b64 v[16:17], v1, s[10:11] offset:40
	s_mov_b32 s16, exec_lo
	v_dual_mov_b32 v26, s14 :: v_dual_mov_b32 v27, s15
	s_wait_loadcnt 0x0
	v_and_b32_e32 v17, s15, v17
	v_and_b32_e32 v16, s14, v16
	s_delay_alu instid0(VALU_DEP_1) | instskip(NEXT) | instid1(VALU_DEP_1)
	v_mul_u64_e32 v[16:17], 24, v[16:17]
	v_add_nc_u64_e32 v[20:21], v[22:23], v[16:17]
	global_store_b64 v[20:21], v[28:29], off
	global_wb scope:SCOPE_SYS
	s_wait_storecnt 0x0
	s_wait_xcnt 0x0
	global_atomic_cmpswap_b64 v[18:19], v1, v[26:29], s[10:11] offset:32 th:TH_ATOMIC_RETURN scope:SCOPE_SYS
	s_wait_loadcnt 0x0
	s_wait_xcnt 0x0
	v_cmpx_ne_u64_e64 v[18:19], v[28:29]
	s_cbranch_execz .LBB3_841
; %bb.839:                              ;   in Loop: Header=BB3_5 Depth=1
	s_mov_b32 s17, 0
.LBB3_840:                              ;   Parent Loop BB3_5 Depth=1
                                        ; =>  This Inner Loop Header: Depth=2
	v_dual_mov_b32 v16, s14 :: v_dual_mov_b32 v17, s15
	s_sleep 1
	global_store_b64 v[20:21], v[18:19], off
	global_wb scope:SCOPE_SYS
	s_wait_storecnt 0x0
	s_wait_xcnt 0x0
	global_atomic_cmpswap_b64 v[16:17], v1, v[16:19], s[10:11] offset:32 th:TH_ATOMIC_RETURN scope:SCOPE_SYS
	s_wait_loadcnt 0x0
	v_cmp_eq_u64_e32 vcc_lo, v[16:17], v[18:19]
	s_wait_xcnt 0x0
	v_mov_b64_e32 v[18:19], v[16:17]
	s_or_b32 s17, vcc_lo, s17
	s_delay_alu instid0(SALU_CYCLE_1)
	s_and_not1_b32 exec_lo, exec_lo, s17
	s_cbranch_execnz .LBB3_840
.LBB3_841:                              ;   in Loop: Header=BB3_5 Depth=1
	s_or_b32 exec_lo, exec_lo, s16
	global_load_b64 v[16:17], v1, s[10:11] offset:16
	s_mov_b32 s17, exec_lo
	s_mov_b32 s16, exec_lo
	v_mbcnt_lo_u32_b32 v0, s17, 0
	s_wait_xcnt 0x0
	s_delay_alu instid0(VALU_DEP_1)
	v_cmpx_eq_u32_e32 0, v0
	s_cbranch_execz .LBB3_843
; %bb.842:                              ;   in Loop: Header=BB3_5 Depth=1
	s_bcnt1_i32_b32 s17, s17
	s_delay_alu instid0(SALU_CYCLE_1)
	v_mov_b32_e32 v0, s17
	global_wb scope:SCOPE_SYS
	s_wait_loadcnt 0x0
	s_wait_storecnt 0x0
	global_atomic_add_u64 v[16:17], v[0:1], off offset:8 scope:SCOPE_SYS
.LBB3_843:                              ;   in Loop: Header=BB3_5 Depth=1
	s_wait_xcnt 0x0
	s_or_b32 exec_lo, exec_lo, s16
	s_wait_loadcnt 0x0
	global_load_b64 v[18:19], v[16:17], off offset:16
	s_wait_loadcnt 0x0
	v_cmp_eq_u64_e32 vcc_lo, 0, v[18:19]
	s_cbranch_vccnz .LBB3_845
; %bb.844:                              ;   in Loop: Header=BB3_5 Depth=1
	global_load_b32 v0, v[16:17], off offset:24
	s_wait_loadcnt 0x0
	v_readfirstlane_b32 s16, v0
	global_wb scope:SCOPE_SYS
	s_wait_storecnt 0x0
	s_wait_xcnt 0x0
	global_store_b64 v[18:19], v[0:1], off scope:SCOPE_SYS
	s_and_b32 m0, s16, 0xffffff
	s_sendmsg sendmsg(MSG_INTERRUPT)
.LBB3_845:                              ;   in Loop: Header=BB3_5 Depth=1
	s_wait_xcnt 0x0
	s_or_b32 exec_lo, exec_lo, s3
	v_mov_b32_e32 v43, v1
	s_delay_alu instid0(VALU_DEP_1)
	v_add_nc_u64_e32 v[16:17], v[24:25], v[42:43]
	s_branch .LBB3_849
.LBB3_846:                              ;   in Loop: Header=BB3_849 Depth=2
	s_wait_xcnt 0x0
	s_or_b32 exec_lo, exec_lo, s3
	s_delay_alu instid0(VALU_DEP_1)
	v_readfirstlane_b32 s3, v0
	s_cmp_eq_u32 s3, 0
	s_cbranch_scc1 .LBB3_848
; %bb.847:                              ;   in Loop: Header=BB3_849 Depth=2
	s_sleep 1
	s_cbranch_execnz .LBB3_849
	s_branch .LBB3_851
.LBB3_848:                              ;   in Loop: Header=BB3_5 Depth=1
	s_branch .LBB3_851
.LBB3_849:                              ;   Parent Loop BB3_5 Depth=1
                                        ; =>  This Inner Loop Header: Depth=2
	v_mov_b32_e32 v0, 1
	s_and_saveexec_b32 s3, s2
	s_cbranch_execz .LBB3_846
; %bb.850:                              ;   in Loop: Header=BB3_849 Depth=2
	global_load_b32 v0, v[6:7], off offset:20 scope:SCOPE_SYS
	s_wait_loadcnt 0x0
	global_inv scope:SCOPE_SYS
	v_and_b32_e32 v0, 1, v0
	s_branch .LBB3_846
.LBB3_851:                              ;   in Loop: Header=BB3_5 Depth=1
	global_load_b64 v[16:17], v[16:17], off
	s_wait_xcnt 0x0
	s_and_saveexec_b32 s16, s2
	s_cbranch_execz .LBB3_855
; %bb.852:                              ;   in Loop: Header=BB3_5 Depth=1
	s_clause 0x2
	global_load_b64 v[6:7], v1, s[10:11] offset:40
	global_load_b64 v[22:23], v1, s[10:11] offset:24 scope:SCOPE_SYS
	global_load_b64 v[18:19], v1, s[10:11]
	s_wait_loadcnt 0x2
	v_readfirstlane_b32 s18, v6
	v_readfirstlane_b32 s19, v7
	s_add_nc_u64 s[2:3], s[18:19], 1
	s_delay_alu instid0(SALU_CYCLE_1) | instskip(NEXT) | instid1(SALU_CYCLE_1)
	s_add_nc_u64 s[14:15], s[2:3], s[14:15]
	s_cmp_eq_u64 s[14:15], 0
	s_cselect_b32 s3, s3, s15
	s_cselect_b32 s2, s2, s14
	s_delay_alu instid0(SALU_CYCLE_1) | instskip(SKIP_1) | instid1(SALU_CYCLE_1)
	v_dual_mov_b32 v21, s3 :: v_dual_mov_b32 v20, s2
	s_and_b64 s[14:15], s[2:3], s[18:19]
	s_mul_u64 s[14:15], s[14:15], 24
	s_wait_loadcnt 0x0
	v_add_nc_u64_e32 v[6:7], s[14:15], v[18:19]
	global_store_b64 v[6:7], v[22:23], off
	global_wb scope:SCOPE_SYS
	s_wait_storecnt 0x0
	s_wait_xcnt 0x0
	global_atomic_cmpswap_b64 v[20:21], v1, v[20:23], s[10:11] offset:24 th:TH_ATOMIC_RETURN scope:SCOPE_SYS
	s_wait_loadcnt 0x0
	v_cmp_ne_u64_e32 vcc_lo, v[20:21], v[22:23]
	s_wait_xcnt 0x0
	s_and_b32 exec_lo, exec_lo, vcc_lo
	s_cbranch_execz .LBB3_855
; %bb.853:                              ;   in Loop: Header=BB3_5 Depth=1
	s_mov_b32 s14, 0
.LBB3_854:                              ;   Parent Loop BB3_5 Depth=1
                                        ; =>  This Inner Loop Header: Depth=2
	v_dual_mov_b32 v18, s2 :: v_dual_mov_b32 v19, s3
	s_sleep 1
	global_store_b64 v[6:7], v[20:21], off
	global_wb scope:SCOPE_SYS
	s_wait_storecnt 0x0
	s_wait_xcnt 0x0
	global_atomic_cmpswap_b64 v[18:19], v1, v[18:21], s[10:11] offset:24 th:TH_ATOMIC_RETURN scope:SCOPE_SYS
	s_wait_loadcnt 0x0
	v_cmp_eq_u64_e32 vcc_lo, v[18:19], v[20:21]
	s_wait_xcnt 0x0
	v_mov_b64_e32 v[20:21], v[18:19]
	s_or_b32 s14, vcc_lo, s14
	s_delay_alu instid0(SALU_CYCLE_1)
	s_and_not1_b32 exec_lo, exec_lo, s14
	s_cbranch_execnz .LBB3_854
.LBB3_855:                              ;   in Loop: Header=BB3_5 Depth=1
	s_or_b32 exec_lo, exec_lo, s16
	v_readfirstlane_b32 s2, v40
	v_mov_b64_e32 v[6:7], 0
	s_delay_alu instid0(VALU_DEP_2)
	v_cmp_eq_u32_e64 s2, s2, v40
	s_and_saveexec_b32 s3, s2
	s_cbranch_execz .LBB3_861
; %bb.856:                              ;   in Loop: Header=BB3_5 Depth=1
	global_load_b64 v[20:21], v1, s[10:11] offset:24 scope:SCOPE_SYS
	s_wait_loadcnt 0x0
	global_inv scope:SCOPE_SYS
	s_clause 0x1
	global_load_b64 v[6:7], v1, s[10:11] offset:40
	global_load_b64 v[18:19], v1, s[10:11]
	s_mov_b32 s14, exec_lo
	s_wait_loadcnt 0x1
	v_and_b32_e32 v6, v6, v20
	v_and_b32_e32 v7, v7, v21
	s_delay_alu instid0(VALU_DEP_1) | instskip(SKIP_1) | instid1(VALU_DEP_1)
	v_mul_u64_e32 v[6:7], 24, v[6:7]
	s_wait_loadcnt 0x0
	v_add_nc_u64_e32 v[6:7], v[18:19], v[6:7]
	global_load_b64 v[18:19], v[6:7], off scope:SCOPE_SYS
	s_wait_xcnt 0x0
	s_wait_loadcnt 0x0
	global_atomic_cmpswap_b64 v[6:7], v1, v[18:21], s[10:11] offset:24 th:TH_ATOMIC_RETURN scope:SCOPE_SYS
	s_wait_loadcnt 0x0
	global_inv scope:SCOPE_SYS
	s_wait_xcnt 0x0
	v_cmpx_ne_u64_e64 v[6:7], v[20:21]
	s_cbranch_execz .LBB3_860
; %bb.857:                              ;   in Loop: Header=BB3_5 Depth=1
	s_mov_b32 s15, 0
.LBB3_858:                              ;   Parent Loop BB3_5 Depth=1
                                        ; =>  This Inner Loop Header: Depth=2
	s_sleep 1
	s_clause 0x1
	global_load_b64 v[18:19], v1, s[10:11] offset:40
	global_load_b64 v[22:23], v1, s[10:11]
	v_mov_b64_e32 v[20:21], v[6:7]
	s_wait_loadcnt 0x1
	s_delay_alu instid0(VALU_DEP_1) | instskip(SKIP_1) | instid1(VALU_DEP_1)
	v_and_b32_e32 v0, v18, v20
	s_wait_loadcnt 0x0
	v_mad_nc_u64_u32 v[6:7], v0, 24, v[22:23]
	s_delay_alu instid0(VALU_DEP_3) | instskip(NEXT) | instid1(VALU_DEP_1)
	v_and_b32_e32 v0, v19, v21
	v_mad_u32 v7, v0, 24, v7
	global_load_b64 v[18:19], v[6:7], off scope:SCOPE_SYS
	s_wait_xcnt 0x0
	s_wait_loadcnt 0x0
	global_atomic_cmpswap_b64 v[6:7], v1, v[18:21], s[10:11] offset:24 th:TH_ATOMIC_RETURN scope:SCOPE_SYS
	s_wait_loadcnt 0x0
	global_inv scope:SCOPE_SYS
	v_cmp_eq_u64_e32 vcc_lo, v[6:7], v[20:21]
	s_or_b32 s15, vcc_lo, s15
	s_wait_xcnt 0x0
	s_and_not1_b32 exec_lo, exec_lo, s15
	s_cbranch_execnz .LBB3_858
; %bb.859:                              ;   in Loop: Header=BB3_5 Depth=1
	s_or_b32 exec_lo, exec_lo, s15
.LBB3_860:                              ;   in Loop: Header=BB3_5 Depth=1
	s_delay_alu instid0(SALU_CYCLE_1)
	s_or_b32 exec_lo, exec_lo, s14
.LBB3_861:                              ;   in Loop: Header=BB3_5 Depth=1
	s_delay_alu instid0(SALU_CYCLE_1)
	s_or_b32 exec_lo, exec_lo, s3
	s_clause 0x1
	global_load_b64 v[18:19], v1, s[10:11] offset:40
	global_load_b128 v[20:23], v1, s[10:11]
	v_readfirstlane_b32 s14, v6
	v_readfirstlane_b32 s15, v7
	s_mov_b32 s3, exec_lo
	s_wait_loadcnt 0x1
	v_and_b32_e32 v18, s14, v18
	v_and_b32_e32 v19, s15, v19
	s_delay_alu instid0(VALU_DEP_1) | instskip(SKIP_1) | instid1(VALU_DEP_1)
	v_mul_u64_e32 v[6:7], 24, v[18:19]
	s_wait_loadcnt 0x0
	v_add_nc_u64_e32 v[6:7], v[20:21], v[6:7]
	s_wait_xcnt 0x0
	s_and_saveexec_b32 s16, s2
	s_cbranch_execz .LBB3_863
; %bb.862:                              ;   in Loop: Header=BB3_5 Depth=1
	v_mov_b32_e32 v0, s3
	global_store_b128 v[6:7], v[0:3], off offset:8
.LBB3_863:                              ;   in Loop: Header=BB3_5 Depth=1
	s_wait_xcnt 0x0
	s_or_b32 exec_lo, exec_lo, s16
	v_lshlrev_b64_e32 v[18:19], 12, v[18:19]
	s_mul_i32 s3, s27, 0x64
	v_mov_b64_e32 v[26:27], s[6:7]
	v_mov_b64_e32 v[24:25], s[4:5]
	v_and_or_b32 v16, 0xffffff1d, v16, 34
	s_delay_alu instid0(VALU_DEP_4) | instskip(SKIP_1) | instid1(VALU_DEP_2)
	v_add_nc_u64_e32 v[22:23], v[22:23], v[18:19]
	v_dual_mov_b32 v19, v1 :: v_dual_mov_b32 v18, s3
	v_readfirstlane_b32 s16, v22
	s_delay_alu instid0(VALU_DEP_3)
	v_readfirstlane_b32 s17, v23
	s_clause 0x3
	global_store_b128 v42, v[16:19], s[16:17]
	global_store_b128 v42, v[24:27], s[16:17] offset:16
	global_store_b128 v42, v[24:27], s[16:17] offset:32
	global_store_b128 v42, v[24:27], s[16:17] offset:48
	s_wait_xcnt 0x0
	s_and_saveexec_b32 s3, s2
	s_cbranch_execz .LBB3_871
; %bb.864:                              ;   in Loop: Header=BB3_5 Depth=1
	s_clause 0x1
	global_load_b64 v[26:27], v1, s[10:11] offset:32 scope:SCOPE_SYS
	global_load_b64 v[16:17], v1, s[10:11] offset:40
	s_mov_b32 s16, exec_lo
	v_dual_mov_b32 v24, s14 :: v_dual_mov_b32 v25, s15
	s_wait_loadcnt 0x0
	v_and_b32_e32 v17, s15, v17
	v_and_b32_e32 v16, s14, v16
	s_delay_alu instid0(VALU_DEP_1) | instskip(NEXT) | instid1(VALU_DEP_1)
	v_mul_u64_e32 v[16:17], 24, v[16:17]
	v_add_nc_u64_e32 v[20:21], v[20:21], v[16:17]
	global_store_b64 v[20:21], v[26:27], off
	global_wb scope:SCOPE_SYS
	s_wait_storecnt 0x0
	s_wait_xcnt 0x0
	global_atomic_cmpswap_b64 v[18:19], v1, v[24:27], s[10:11] offset:32 th:TH_ATOMIC_RETURN scope:SCOPE_SYS
	s_wait_loadcnt 0x0
	s_wait_xcnt 0x0
	v_cmpx_ne_u64_e64 v[18:19], v[26:27]
	s_cbranch_execz .LBB3_867
; %bb.865:                              ;   in Loop: Header=BB3_5 Depth=1
	s_mov_b32 s17, 0
.LBB3_866:                              ;   Parent Loop BB3_5 Depth=1
                                        ; =>  This Inner Loop Header: Depth=2
	v_dual_mov_b32 v16, s14 :: v_dual_mov_b32 v17, s15
	s_sleep 1
	global_store_b64 v[20:21], v[18:19], off
	global_wb scope:SCOPE_SYS
	s_wait_storecnt 0x0
	s_wait_xcnt 0x0
	global_atomic_cmpswap_b64 v[16:17], v1, v[16:19], s[10:11] offset:32 th:TH_ATOMIC_RETURN scope:SCOPE_SYS
	s_wait_loadcnt 0x0
	v_cmp_eq_u64_e32 vcc_lo, v[16:17], v[18:19]
	s_wait_xcnt 0x0
	v_mov_b64_e32 v[18:19], v[16:17]
	s_or_b32 s17, vcc_lo, s17
	s_delay_alu instid0(SALU_CYCLE_1)
	s_and_not1_b32 exec_lo, exec_lo, s17
	s_cbranch_execnz .LBB3_866
.LBB3_867:                              ;   in Loop: Header=BB3_5 Depth=1
	s_or_b32 exec_lo, exec_lo, s16
	global_load_b64 v[16:17], v1, s[10:11] offset:16
	s_mov_b32 s17, exec_lo
	s_mov_b32 s16, exec_lo
	v_mbcnt_lo_u32_b32 v0, s17, 0
	s_wait_xcnt 0x0
	s_delay_alu instid0(VALU_DEP_1)
	v_cmpx_eq_u32_e32 0, v0
	s_cbranch_execz .LBB3_869
; %bb.868:                              ;   in Loop: Header=BB3_5 Depth=1
	s_bcnt1_i32_b32 s17, s17
	s_delay_alu instid0(SALU_CYCLE_1)
	v_mov_b32_e32 v0, s17
	global_wb scope:SCOPE_SYS
	s_wait_loadcnt 0x0
	s_wait_storecnt 0x0
	global_atomic_add_u64 v[16:17], v[0:1], off offset:8 scope:SCOPE_SYS
.LBB3_869:                              ;   in Loop: Header=BB3_5 Depth=1
	s_wait_xcnt 0x0
	s_or_b32 exec_lo, exec_lo, s16
	s_wait_loadcnt 0x0
	global_load_b64 v[18:19], v[16:17], off offset:16
	s_wait_loadcnt 0x0
	v_cmp_eq_u64_e32 vcc_lo, 0, v[18:19]
	s_cbranch_vccnz .LBB3_871
; %bb.870:                              ;   in Loop: Header=BB3_5 Depth=1
	global_load_b32 v0, v[16:17], off offset:24
	s_wait_loadcnt 0x0
	v_readfirstlane_b32 s16, v0
	global_wb scope:SCOPE_SYS
	s_wait_storecnt 0x0
	s_wait_xcnt 0x0
	global_store_b64 v[18:19], v[0:1], off scope:SCOPE_SYS
	s_and_b32 m0, s16, 0xffffff
	s_sendmsg sendmsg(MSG_INTERRUPT)
.LBB3_871:                              ;   in Loop: Header=BB3_5 Depth=1
	s_wait_xcnt 0x0
	s_or_b32 exec_lo, exec_lo, s3
	v_mov_b32_e32 v43, v1
	s_delay_alu instid0(VALU_DEP_1)
	v_add_nc_u64_e32 v[16:17], v[22:23], v[42:43]
	s_branch .LBB3_875
.LBB3_872:                              ;   in Loop: Header=BB3_875 Depth=2
	s_wait_xcnt 0x0
	s_or_b32 exec_lo, exec_lo, s3
	s_delay_alu instid0(VALU_DEP_1)
	v_readfirstlane_b32 s3, v0
	s_cmp_eq_u32 s3, 0
	s_cbranch_scc1 .LBB3_874
; %bb.873:                              ;   in Loop: Header=BB3_875 Depth=2
	s_sleep 1
	s_cbranch_execnz .LBB3_875
	s_branch .LBB3_877
.LBB3_874:                              ;   in Loop: Header=BB3_5 Depth=1
	s_branch .LBB3_877
.LBB3_875:                              ;   Parent Loop BB3_5 Depth=1
                                        ; =>  This Inner Loop Header: Depth=2
	v_mov_b32_e32 v0, 1
	s_and_saveexec_b32 s3, s2
	s_cbranch_execz .LBB3_872
; %bb.876:                              ;   in Loop: Header=BB3_875 Depth=2
	global_load_b32 v0, v[6:7], off offset:20 scope:SCOPE_SYS
	s_wait_loadcnt 0x0
	global_inv scope:SCOPE_SYS
	v_and_b32_e32 v0, 1, v0
	s_branch .LBB3_872
.LBB3_877:                              ;   in Loop: Header=BB3_5 Depth=1
	global_load_b64 v[50:51], v[16:17], off
	s_wait_xcnt 0x0
	s_and_saveexec_b32 s16, s2
	s_cbranch_execz .LBB3_881
; %bb.878:                              ;   in Loop: Header=BB3_5 Depth=1
	s_clause 0x2
	global_load_b64 v[6:7], v1, s[10:11] offset:40
	global_load_b64 v[20:21], v1, s[10:11] offset:24 scope:SCOPE_SYS
	global_load_b64 v[16:17], v1, s[10:11]
	s_wait_loadcnt 0x2
	v_readfirstlane_b32 s18, v6
	v_readfirstlane_b32 s19, v7
	s_add_nc_u64 s[2:3], s[18:19], 1
	s_delay_alu instid0(SALU_CYCLE_1) | instskip(NEXT) | instid1(SALU_CYCLE_1)
	s_add_nc_u64 s[14:15], s[2:3], s[14:15]
	s_cmp_eq_u64 s[14:15], 0
	s_cselect_b32 s3, s3, s15
	s_cselect_b32 s2, s2, s14
	s_delay_alu instid0(SALU_CYCLE_1) | instskip(SKIP_1) | instid1(SALU_CYCLE_1)
	v_dual_mov_b32 v19, s3 :: v_dual_mov_b32 v18, s2
	s_and_b64 s[14:15], s[2:3], s[18:19]
	s_mul_u64 s[14:15], s[14:15], 24
	s_wait_loadcnt 0x0
	v_add_nc_u64_e32 v[6:7], s[14:15], v[16:17]
	global_store_b64 v[6:7], v[20:21], off
	global_wb scope:SCOPE_SYS
	s_wait_storecnt 0x0
	s_wait_xcnt 0x0
	global_atomic_cmpswap_b64 v[18:19], v1, v[18:21], s[10:11] offset:24 th:TH_ATOMIC_RETURN scope:SCOPE_SYS
	s_wait_loadcnt 0x0
	v_cmp_ne_u64_e32 vcc_lo, v[18:19], v[20:21]
	s_and_b32 exec_lo, exec_lo, vcc_lo
	s_cbranch_execz .LBB3_881
; %bb.879:                              ;   in Loop: Header=BB3_5 Depth=1
	s_mov_b32 s14, 0
.LBB3_880:                              ;   Parent Loop BB3_5 Depth=1
                                        ; =>  This Inner Loop Header: Depth=2
	v_dual_mov_b32 v16, s2 :: v_dual_mov_b32 v17, s3
	s_sleep 1
	global_store_b64 v[6:7], v[18:19], off
	global_wb scope:SCOPE_SYS
	s_wait_storecnt 0x0
	s_wait_xcnt 0x0
	global_atomic_cmpswap_b64 v[16:17], v1, v[16:19], s[10:11] offset:24 th:TH_ATOMIC_RETURN scope:SCOPE_SYS
	s_wait_loadcnt 0x0
	v_cmp_eq_u64_e32 vcc_lo, v[16:17], v[18:19]
	v_mov_b64_e32 v[18:19], v[16:17]
	s_or_b32 s14, vcc_lo, s14
	s_delay_alu instid0(SALU_CYCLE_1)
	s_and_not1_b32 exec_lo, exec_lo, s14
	s_cbranch_execnz .LBB3_880
.LBB3_881:                              ;   in Loop: Header=BB3_5 Depth=1
	s_or_b32 exec_lo, exec_lo, s16
	v_readfirstlane_b32 s2, v40
	v_mov_b64_e32 v[6:7], 0
	s_delay_alu instid0(VALU_DEP_2)
	v_cmp_eq_u32_e64 s2, s2, v40
	s_and_saveexec_b32 s3, s2
	s_cbranch_execz .LBB3_887
; %bb.882:                              ;   in Loop: Header=BB3_5 Depth=1
	global_load_b64 v[18:19], v1, s[10:11] offset:24 scope:SCOPE_SYS
	s_wait_loadcnt 0x0
	global_inv scope:SCOPE_SYS
	s_clause 0x1
	global_load_b64 v[6:7], v1, s[10:11] offset:40
	global_load_b64 v[16:17], v1, s[10:11]
	s_mov_b32 s14, exec_lo
	s_wait_loadcnt 0x1
	v_and_b32_e32 v6, v6, v18
	v_and_b32_e32 v7, v7, v19
	s_delay_alu instid0(VALU_DEP_1) | instskip(SKIP_1) | instid1(VALU_DEP_1)
	v_mul_u64_e32 v[6:7], 24, v[6:7]
	s_wait_loadcnt 0x0
	v_add_nc_u64_e32 v[6:7], v[16:17], v[6:7]
	global_load_b64 v[16:17], v[6:7], off scope:SCOPE_SYS
	s_wait_xcnt 0x0
	s_wait_loadcnt 0x0
	global_atomic_cmpswap_b64 v[6:7], v1, v[16:19], s[10:11] offset:24 th:TH_ATOMIC_RETURN scope:SCOPE_SYS
	s_wait_loadcnt 0x0
	global_inv scope:SCOPE_SYS
	s_wait_xcnt 0x0
	v_cmpx_ne_u64_e64 v[6:7], v[18:19]
	s_cbranch_execz .LBB3_886
; %bb.883:                              ;   in Loop: Header=BB3_5 Depth=1
	s_mov_b32 s15, 0
.LBB3_884:                              ;   Parent Loop BB3_5 Depth=1
                                        ; =>  This Inner Loop Header: Depth=2
	s_sleep 1
	s_clause 0x1
	global_load_b64 v[16:17], v1, s[10:11] offset:40
	global_load_b64 v[20:21], v1, s[10:11]
	v_mov_b64_e32 v[18:19], v[6:7]
	s_wait_loadcnt 0x1
	s_delay_alu instid0(VALU_DEP_1) | instskip(SKIP_1) | instid1(VALU_DEP_1)
	v_and_b32_e32 v0, v16, v18
	s_wait_loadcnt 0x0
	v_mad_nc_u64_u32 v[6:7], v0, 24, v[20:21]
	s_delay_alu instid0(VALU_DEP_3) | instskip(NEXT) | instid1(VALU_DEP_1)
	v_and_b32_e32 v0, v17, v19
	v_mad_u32 v7, v0, 24, v7
	global_load_b64 v[16:17], v[6:7], off scope:SCOPE_SYS
	s_wait_xcnt 0x0
	s_wait_loadcnt 0x0
	global_atomic_cmpswap_b64 v[6:7], v1, v[16:19], s[10:11] offset:24 th:TH_ATOMIC_RETURN scope:SCOPE_SYS
	s_wait_loadcnt 0x0
	global_inv scope:SCOPE_SYS
	v_cmp_eq_u64_e32 vcc_lo, v[6:7], v[18:19]
	s_or_b32 s15, vcc_lo, s15
	s_wait_xcnt 0x0
	s_and_not1_b32 exec_lo, exec_lo, s15
	s_cbranch_execnz .LBB3_884
; %bb.885:                              ;   in Loop: Header=BB3_5 Depth=1
	s_or_b32 exec_lo, exec_lo, s15
.LBB3_886:                              ;   in Loop: Header=BB3_5 Depth=1
	s_delay_alu instid0(SALU_CYCLE_1)
	s_or_b32 exec_lo, exec_lo, s14
.LBB3_887:                              ;   in Loop: Header=BB3_5 Depth=1
	s_delay_alu instid0(SALU_CYCLE_1)
	s_or_b32 exec_lo, exec_lo, s3
	s_clause 0x1
	global_load_b64 v[20:21], v1, s[10:11] offset:40
	global_load_b128 v[16:19], v1, s[10:11]
	v_readfirstlane_b32 s14, v6
	v_readfirstlane_b32 s15, v7
	s_mov_b32 s3, exec_lo
	s_wait_loadcnt 0x1
	v_and_b32_e32 v6, s14, v20
	v_and_b32_e32 v7, s15, v21
	s_delay_alu instid0(VALU_DEP_1) | instskip(SKIP_1) | instid1(VALU_DEP_1)
	v_mul_u64_e32 v[20:21], 24, v[6:7]
	s_wait_loadcnt 0x0
	v_add_nc_u64_e32 v[20:21], v[16:17], v[20:21]
	s_wait_xcnt 0x0
	s_and_saveexec_b32 s16, s2
	s_cbranch_execz .LBB3_889
; %bb.888:                              ;   in Loop: Header=BB3_5 Depth=1
	v_mov_b32_e32 v0, s3
	global_store_b128 v[20:21], v[0:3], off offset:8
.LBB3_889:                              ;   in Loop: Header=BB3_5 Depth=1
	s_wait_xcnt 0x0
	s_or_b32 exec_lo, exec_lo, s16
	v_lshlrev_b64_e32 v[6:7], 12, v[6:7]
	v_mov_b64_e32 v[26:27], s[6:7]
	v_mov_b64_e32 v[24:25], s[4:5]
	v_mov_b32_e32 v5, v1
	s_delay_alu instid0(VALU_DEP_4) | instskip(SKIP_1) | instid1(VALU_DEP_2)
	v_add_nc_u64_e32 v[22:23], v[18:19], v[6:7]
	v_dual_mov_b32 v6, v1 :: v_dual_mov_b32 v7, v1
	v_readfirstlane_b32 s16, v22
	s_delay_alu instid0(VALU_DEP_3)
	v_readfirstlane_b32 s17, v23
	s_clause 0x3
	global_store_b128 v42, v[4:7], s[16:17]
	global_store_b128 v42, v[24:27], s[16:17] offset:16
	global_store_b128 v42, v[24:27], s[16:17] offset:32
	;; [unrolled: 1-line block ×3, first 2 shown]
	s_wait_xcnt 0x0
	s_and_saveexec_b32 s3, s2
	s_cbranch_execz .LBB3_897
; %bb.890:                              ;   in Loop: Header=BB3_5 Depth=1
	s_clause 0x1
	global_load_b64 v[26:27], v1, s[10:11] offset:32 scope:SCOPE_SYS
	global_load_b64 v[6:7], v1, s[10:11] offset:40
	s_mov_b32 s16, exec_lo
	v_dual_mov_b32 v24, s14 :: v_dual_mov_b32 v25, s15
	s_wait_loadcnt 0x0
	v_and_b32_e32 v7, s15, v7
	v_and_b32_e32 v6, s14, v6
	s_delay_alu instid0(VALU_DEP_1) | instskip(NEXT) | instid1(VALU_DEP_1)
	v_mul_u64_e32 v[6:7], 24, v[6:7]
	v_add_nc_u64_e32 v[6:7], v[16:17], v[6:7]
	global_store_b64 v[6:7], v[26:27], off
	global_wb scope:SCOPE_SYS
	s_wait_storecnt 0x0
	s_wait_xcnt 0x0
	global_atomic_cmpswap_b64 v[18:19], v1, v[24:27], s[10:11] offset:32 th:TH_ATOMIC_RETURN scope:SCOPE_SYS
	s_wait_loadcnt 0x0
	v_cmpx_ne_u64_e64 v[18:19], v[26:27]
	s_cbranch_execz .LBB3_893
; %bb.891:                              ;   in Loop: Header=BB3_5 Depth=1
	s_mov_b32 s17, 0
.LBB3_892:                              ;   Parent Loop BB3_5 Depth=1
                                        ; =>  This Inner Loop Header: Depth=2
	v_dual_mov_b32 v16, s14 :: v_dual_mov_b32 v17, s15
	s_sleep 1
	global_store_b64 v[6:7], v[18:19], off
	global_wb scope:SCOPE_SYS
	s_wait_storecnt 0x0
	s_wait_xcnt 0x0
	global_atomic_cmpswap_b64 v[16:17], v1, v[16:19], s[10:11] offset:32 th:TH_ATOMIC_RETURN scope:SCOPE_SYS
	s_wait_loadcnt 0x0
	v_cmp_eq_u64_e32 vcc_lo, v[16:17], v[18:19]
	v_mov_b64_e32 v[18:19], v[16:17]
	s_or_b32 s17, vcc_lo, s17
	s_delay_alu instid0(SALU_CYCLE_1)
	s_and_not1_b32 exec_lo, exec_lo, s17
	s_cbranch_execnz .LBB3_892
.LBB3_893:                              ;   in Loop: Header=BB3_5 Depth=1
	s_or_b32 exec_lo, exec_lo, s16
	global_load_b64 v[6:7], v1, s[10:11] offset:16
	s_mov_b32 s17, exec_lo
	s_mov_b32 s16, exec_lo
	v_mbcnt_lo_u32_b32 v0, s17, 0
	s_wait_xcnt 0x0
	s_delay_alu instid0(VALU_DEP_1)
	v_cmpx_eq_u32_e32 0, v0
	s_cbranch_execz .LBB3_895
; %bb.894:                              ;   in Loop: Header=BB3_5 Depth=1
	s_bcnt1_i32_b32 s17, s17
	s_delay_alu instid0(SALU_CYCLE_1)
	v_mov_b32_e32 v0, s17
	global_wb scope:SCOPE_SYS
	s_wait_loadcnt 0x0
	s_wait_storecnt 0x0
	global_atomic_add_u64 v[6:7], v[0:1], off offset:8 scope:SCOPE_SYS
.LBB3_895:                              ;   in Loop: Header=BB3_5 Depth=1
	s_wait_xcnt 0x0
	s_or_b32 exec_lo, exec_lo, s16
	s_wait_loadcnt 0x0
	global_load_b64 v[16:17], v[6:7], off offset:16
	s_wait_loadcnt 0x0
	v_cmp_eq_u64_e32 vcc_lo, 0, v[16:17]
	s_cbranch_vccnz .LBB3_897
; %bb.896:                              ;   in Loop: Header=BB3_5 Depth=1
	global_load_b32 v0, v[6:7], off offset:24
	s_wait_loadcnt 0x0
	v_readfirstlane_b32 s16, v0
	global_wb scope:SCOPE_SYS
	s_wait_storecnt 0x0
	s_wait_xcnt 0x0
	global_store_b64 v[16:17], v[0:1], off scope:SCOPE_SYS
	s_and_b32 m0, s16, 0xffffff
	s_sendmsg sendmsg(MSG_INTERRUPT)
.LBB3_897:                              ;   in Loop: Header=BB3_5 Depth=1
	s_wait_xcnt 0x0
	s_or_b32 exec_lo, exec_lo, s3
	v_mov_b32_e32 v43, v1
	s_delay_alu instid0(VALU_DEP_1)
	v_add_nc_u64_e32 v[6:7], v[22:23], v[42:43]
	s_branch .LBB3_901
.LBB3_898:                              ;   in Loop: Header=BB3_901 Depth=2
	s_wait_xcnt 0x0
	s_or_b32 exec_lo, exec_lo, s3
	s_delay_alu instid0(VALU_DEP_1)
	v_readfirstlane_b32 s3, v0
	s_cmp_eq_u32 s3, 0
	s_cbranch_scc1 .LBB3_900
; %bb.899:                              ;   in Loop: Header=BB3_901 Depth=2
	s_sleep 1
	s_cbranch_execnz .LBB3_901
	s_branch .LBB3_903
.LBB3_900:                              ;   in Loop: Header=BB3_5 Depth=1
	s_branch .LBB3_903
.LBB3_901:                              ;   Parent Loop BB3_5 Depth=1
                                        ; =>  This Inner Loop Header: Depth=2
	v_mov_b32_e32 v0, 1
	s_and_saveexec_b32 s3, s2
	s_cbranch_execz .LBB3_898
; %bb.902:                              ;   in Loop: Header=BB3_901 Depth=2
	global_load_b32 v0, v[20:21], off offset:20 scope:SCOPE_SYS
	s_wait_loadcnt 0x0
	global_inv scope:SCOPE_SYS
	v_and_b32_e32 v0, 1, v0
	s_branch .LBB3_898
.LBB3_903:                              ;   in Loop: Header=BB3_5 Depth=1
	global_load_b64 v[20:21], v[6:7], off
	s_wait_xcnt 0x0
	s_and_saveexec_b32 s16, s2
	s_cbranch_execz .LBB3_907
; %bb.904:                              ;   in Loop: Header=BB3_5 Depth=1
	s_clause 0x2
	global_load_b64 v[6:7], v1, s[10:11] offset:40
	global_load_b64 v[24:25], v1, s[10:11] offset:24 scope:SCOPE_SYS
	global_load_b64 v[16:17], v1, s[10:11]
	s_wait_loadcnt 0x2
	v_readfirstlane_b32 s18, v6
	v_readfirstlane_b32 s19, v7
	s_add_nc_u64 s[2:3], s[18:19], 1
	s_delay_alu instid0(SALU_CYCLE_1) | instskip(NEXT) | instid1(SALU_CYCLE_1)
	s_add_nc_u64 s[14:15], s[2:3], s[14:15]
	s_cmp_eq_u64 s[14:15], 0
	s_cselect_b32 s3, s3, s15
	s_cselect_b32 s2, s2, s14
	s_delay_alu instid0(SALU_CYCLE_1) | instskip(SKIP_1) | instid1(SALU_CYCLE_1)
	v_dual_mov_b32 v23, s3 :: v_dual_mov_b32 v22, s2
	s_and_b64 s[14:15], s[2:3], s[18:19]
	s_mul_u64 s[14:15], s[14:15], 24
	s_wait_loadcnt 0x0
	v_add_nc_u64_e32 v[6:7], s[14:15], v[16:17]
	global_store_b64 v[6:7], v[24:25], off
	global_wb scope:SCOPE_SYS
	s_wait_storecnt 0x0
	s_wait_xcnt 0x0
	global_atomic_cmpswap_b64 v[18:19], v1, v[22:25], s[10:11] offset:24 th:TH_ATOMIC_RETURN scope:SCOPE_SYS
	s_wait_loadcnt 0x0
	v_cmp_ne_u64_e32 vcc_lo, v[18:19], v[24:25]
	s_and_b32 exec_lo, exec_lo, vcc_lo
	s_cbranch_execz .LBB3_907
; %bb.905:                              ;   in Loop: Header=BB3_5 Depth=1
	s_mov_b32 s14, 0
.LBB3_906:                              ;   Parent Loop BB3_5 Depth=1
                                        ; =>  This Inner Loop Header: Depth=2
	v_dual_mov_b32 v16, s2 :: v_dual_mov_b32 v17, s3
	s_sleep 1
	global_store_b64 v[6:7], v[18:19], off
	global_wb scope:SCOPE_SYS
	s_wait_storecnt 0x0
	s_wait_xcnt 0x0
	global_atomic_cmpswap_b64 v[16:17], v1, v[16:19], s[10:11] offset:24 th:TH_ATOMIC_RETURN scope:SCOPE_SYS
	s_wait_loadcnt 0x0
	v_cmp_eq_u64_e32 vcc_lo, v[16:17], v[18:19]
	v_mov_b64_e32 v[18:19], v[16:17]
	s_or_b32 s14, vcc_lo, s14
	s_delay_alu instid0(SALU_CYCLE_1)
	s_and_not1_b32 exec_lo, exec_lo, s14
	s_cbranch_execnz .LBB3_906
.LBB3_907:                              ;   in Loop: Header=BB3_5 Depth=1
	s_or_b32 exec_lo, exec_lo, s16
	s_delay_alu instid0(SALU_CYCLE_1)
	s_and_b32 vcc_lo, exec_lo, s25
	s_cbranch_vccz .LBB3_1065
; %bb.908:                              ;   in Loop: Header=BB3_5 Depth=1
	s_wait_loadcnt 0x0
	v_dual_mov_b32 v17, v21 :: v_dual_bitop2_b32 v6, 2, v20 bitop3:0x40
	v_and_b32_e32 v16, -3, v20
	s_mov_b64 s[16:17], 9
	s_get_pc_i64 s[14:15]
	s_add_nc_u64 s[14:15], s[14:15], .str.5@rel64+4
	s_branch .LBB3_910
.LBB3_909:                              ;   in Loop: Header=BB3_910 Depth=2
	s_or_b32 exec_lo, exec_lo, s22
	s_sub_nc_u64 s[16:17], s[16:17], s[18:19]
	s_add_nc_u64 s[14:15], s[14:15], s[18:19]
	s_cmp_lg_u64 s[16:17], 0
	s_cbranch_scc0 .LBB3_985
.LBB3_910:                              ;   Parent Loop BB3_5 Depth=1
                                        ; =>  This Loop Header: Depth=2
                                        ;       Child Loop BB3_913 Depth 3
                                        ;       Child Loop BB3_920 Depth 3
	;; [unrolled: 1-line block ×11, first 2 shown]
	v_min_u64 v[18:19], s[16:17], 56
	v_cmp_gt_u64_e64 s2, s[16:17], 7
	s_and_b32 vcc_lo, exec_lo, s2
	v_readfirstlane_b32 s18, v18
	v_readfirstlane_b32 s19, v19
	s_cbranch_vccnz .LBB3_915
; %bb.911:                              ;   in Loop: Header=BB3_910 Depth=2
	v_mov_b64_e32 v[18:19], 0
	s_cmp_eq_u64 s[16:17], 0
	s_cbranch_scc1 .LBB3_914
; %bb.912:                              ;   in Loop: Header=BB3_910 Depth=2
	s_mov_b64 s[2:3], 0
	s_mov_b64 s[20:21], 0
.LBB3_913:                              ;   Parent Loop BB3_5 Depth=1
                                        ;     Parent Loop BB3_910 Depth=2
                                        ; =>    This Inner Loop Header: Depth=3
	s_wait_xcnt 0x0
	s_add_nc_u64 s[22:23], s[14:15], s[20:21]
	s_add_nc_u64 s[20:21], s[20:21], 1
	global_load_u8 v0, v1, s[22:23]
	s_cmp_lg_u32 s18, s20
	s_wait_loadcnt 0x0
	v_and_b32_e32 v0, 0xffff, v0
	s_delay_alu instid0(VALU_DEP_1) | instskip(SKIP_1) | instid1(VALU_DEP_1)
	v_lshlrev_b64_e32 v[22:23], s2, v[0:1]
	s_add_nc_u64 s[2:3], s[2:3], 8
	v_or_b32_e32 v18, v22, v18
	s_delay_alu instid0(VALU_DEP_2)
	v_or_b32_e32 v19, v23, v19
	s_cbranch_scc1 .LBB3_913
.LBB3_914:                              ;   in Loop: Header=BB3_910 Depth=2
	s_mov_b64 s[2:3], s[14:15]
	s_mov_b32 s28, 0
	s_cbranch_execz .LBB3_916
	s_branch .LBB3_917
.LBB3_915:                              ;   in Loop: Header=BB3_910 Depth=2
	s_add_nc_u64 s[2:3], s[14:15], 8
	s_mov_b32 s28, 0
.LBB3_916:                              ;   in Loop: Header=BB3_910 Depth=2
	global_load_b64 v[18:19], v1, s[14:15]
	s_add_co_i32 s28, s18, -8
.LBB3_917:                              ;   in Loop: Header=BB3_910 Depth=2
	s_delay_alu instid0(SALU_CYCLE_1)
	s_cmp_gt_u32 s28, 7
	s_cbranch_scc1 .LBB3_922
; %bb.918:                              ;   in Loop: Header=BB3_910 Depth=2
	v_mov_b64_e32 v[22:23], 0
	s_cmp_eq_u32 s28, 0
	s_cbranch_scc1 .LBB3_921
; %bb.919:                              ;   in Loop: Header=BB3_910 Depth=2
	s_mov_b64 s[20:21], 0
	s_wait_xcnt 0x0
	s_mov_b64 s[22:23], 0
.LBB3_920:                              ;   Parent Loop BB3_5 Depth=1
                                        ;     Parent Loop BB3_910 Depth=2
                                        ; =>    This Inner Loop Header: Depth=3
	s_wait_xcnt 0x0
	s_add_nc_u64 s[30:31], s[2:3], s[22:23]
	s_add_nc_u64 s[22:23], s[22:23], 1
	global_load_u8 v0, v1, s[30:31]
	s_cmp_lg_u32 s28, s22
	s_wait_loadcnt 0x0
	v_and_b32_e32 v0, 0xffff, v0
	s_delay_alu instid0(VALU_DEP_1) | instskip(SKIP_1) | instid1(VALU_DEP_1)
	v_lshlrev_b64_e32 v[24:25], s20, v[0:1]
	s_add_nc_u64 s[20:21], s[20:21], 8
	v_or_b32_e32 v22, v24, v22
	s_delay_alu instid0(VALU_DEP_2)
	v_or_b32_e32 v23, v25, v23
	s_cbranch_scc1 .LBB3_920
.LBB3_921:                              ;   in Loop: Header=BB3_910 Depth=2
	s_wait_xcnt 0x0
	s_mov_b64 s[20:21], s[2:3]
	s_mov_b32 s29, 0
	s_cbranch_execz .LBB3_923
	s_branch .LBB3_924
.LBB3_922:                              ;   in Loop: Header=BB3_910 Depth=2
	s_add_nc_u64 s[20:21], s[2:3], 8
	s_wait_xcnt 0x0
                                        ; implicit-def: $vgpr22_vgpr23
	s_mov_b32 s29, 0
.LBB3_923:                              ;   in Loop: Header=BB3_910 Depth=2
	global_load_b64 v[22:23], v1, s[2:3]
	s_add_co_i32 s29, s28, -8
.LBB3_924:                              ;   in Loop: Header=BB3_910 Depth=2
	s_delay_alu instid0(SALU_CYCLE_1)
	s_cmp_gt_u32 s29, 7
	s_cbranch_scc1 .LBB3_929
; %bb.925:                              ;   in Loop: Header=BB3_910 Depth=2
	v_mov_b64_e32 v[24:25], 0
	s_cmp_eq_u32 s29, 0
	s_cbranch_scc1 .LBB3_928
; %bb.926:                              ;   in Loop: Header=BB3_910 Depth=2
	s_wait_xcnt 0x0
	s_mov_b64 s[2:3], 0
	s_mov_b64 s[22:23], 0
.LBB3_927:                              ;   Parent Loop BB3_5 Depth=1
                                        ;     Parent Loop BB3_910 Depth=2
                                        ; =>    This Inner Loop Header: Depth=3
	s_wait_xcnt 0x0
	s_add_nc_u64 s[30:31], s[20:21], s[22:23]
	s_add_nc_u64 s[22:23], s[22:23], 1
	global_load_u8 v0, v1, s[30:31]
	s_cmp_lg_u32 s29, s22
	s_wait_loadcnt 0x0
	v_and_b32_e32 v0, 0xffff, v0
	s_delay_alu instid0(VALU_DEP_1) | instskip(SKIP_1) | instid1(VALU_DEP_1)
	v_lshlrev_b64_e32 v[26:27], s2, v[0:1]
	s_add_nc_u64 s[2:3], s[2:3], 8
	v_or_b32_e32 v24, v26, v24
	s_delay_alu instid0(VALU_DEP_2)
	v_or_b32_e32 v25, v27, v25
	s_cbranch_scc1 .LBB3_927
.LBB3_928:                              ;   in Loop: Header=BB3_910 Depth=2
	s_wait_xcnt 0x0
	s_mov_b64 s[2:3], s[20:21]
	s_mov_b32 s28, 0
	s_cbranch_execz .LBB3_930
	s_branch .LBB3_931
.LBB3_929:                              ;   in Loop: Header=BB3_910 Depth=2
	s_wait_xcnt 0x0
	s_add_nc_u64 s[2:3], s[20:21], 8
	s_mov_b32 s28, 0
.LBB3_930:                              ;   in Loop: Header=BB3_910 Depth=2
	global_load_b64 v[24:25], v1, s[20:21]
	s_add_co_i32 s28, s29, -8
.LBB3_931:                              ;   in Loop: Header=BB3_910 Depth=2
	s_delay_alu instid0(SALU_CYCLE_1)
	s_cmp_gt_u32 s28, 7
	s_cbranch_scc1 .LBB3_936
; %bb.932:                              ;   in Loop: Header=BB3_910 Depth=2
	v_mov_b64_e32 v[26:27], 0
	s_cmp_eq_u32 s28, 0
	s_cbranch_scc1 .LBB3_935
; %bb.933:                              ;   in Loop: Header=BB3_910 Depth=2
	s_wait_xcnt 0x0
	s_mov_b64 s[20:21], 0
	s_mov_b64 s[22:23], 0
.LBB3_934:                              ;   Parent Loop BB3_5 Depth=1
                                        ;     Parent Loop BB3_910 Depth=2
                                        ; =>    This Inner Loop Header: Depth=3
	s_wait_xcnt 0x0
	s_add_nc_u64 s[30:31], s[2:3], s[22:23]
	s_add_nc_u64 s[22:23], s[22:23], 1
	global_load_u8 v0, v1, s[30:31]
	s_cmp_lg_u32 s28, s22
	s_wait_loadcnt 0x0
	v_and_b32_e32 v0, 0xffff, v0
	s_delay_alu instid0(VALU_DEP_1) | instskip(SKIP_1) | instid1(VALU_DEP_1)
	v_lshlrev_b64_e32 v[28:29], s20, v[0:1]
	s_add_nc_u64 s[20:21], s[20:21], 8
	v_or_b32_e32 v26, v28, v26
	s_delay_alu instid0(VALU_DEP_2)
	v_or_b32_e32 v27, v29, v27
	s_cbranch_scc1 .LBB3_934
.LBB3_935:                              ;   in Loop: Header=BB3_910 Depth=2
	s_wait_xcnt 0x0
	s_mov_b64 s[20:21], s[2:3]
	s_mov_b32 s29, 0
	s_cbranch_execz .LBB3_937
	s_branch .LBB3_938
.LBB3_936:                              ;   in Loop: Header=BB3_910 Depth=2
	s_wait_xcnt 0x0
	s_add_nc_u64 s[20:21], s[2:3], 8
                                        ; implicit-def: $vgpr26_vgpr27
	s_mov_b32 s29, 0
.LBB3_937:                              ;   in Loop: Header=BB3_910 Depth=2
	global_load_b64 v[26:27], v1, s[2:3]
	s_add_co_i32 s29, s28, -8
.LBB3_938:                              ;   in Loop: Header=BB3_910 Depth=2
	s_delay_alu instid0(SALU_CYCLE_1)
	s_cmp_gt_u32 s29, 7
	s_cbranch_scc1 .LBB3_943
; %bb.939:                              ;   in Loop: Header=BB3_910 Depth=2
	v_mov_b64_e32 v[28:29], 0
	s_cmp_eq_u32 s29, 0
	s_cbranch_scc1 .LBB3_942
; %bb.940:                              ;   in Loop: Header=BB3_910 Depth=2
	s_wait_xcnt 0x0
	s_mov_b64 s[2:3], 0
	s_mov_b64 s[22:23], 0
.LBB3_941:                              ;   Parent Loop BB3_5 Depth=1
                                        ;     Parent Loop BB3_910 Depth=2
                                        ; =>    This Inner Loop Header: Depth=3
	s_wait_xcnt 0x0
	s_add_nc_u64 s[30:31], s[20:21], s[22:23]
	s_add_nc_u64 s[22:23], s[22:23], 1
	global_load_u8 v0, v1, s[30:31]
	s_cmp_lg_u32 s29, s22
	s_wait_loadcnt 0x0
	v_and_b32_e32 v0, 0xffff, v0
	s_delay_alu instid0(VALU_DEP_1) | instskip(SKIP_1) | instid1(VALU_DEP_1)
	v_lshlrev_b64_e32 v[30:31], s2, v[0:1]
	s_add_nc_u64 s[2:3], s[2:3], 8
	v_or_b32_e32 v28, v30, v28
	s_delay_alu instid0(VALU_DEP_2)
	v_or_b32_e32 v29, v31, v29
	s_cbranch_scc1 .LBB3_941
.LBB3_942:                              ;   in Loop: Header=BB3_910 Depth=2
	s_wait_xcnt 0x0
	s_mov_b64 s[2:3], s[20:21]
	s_mov_b32 s28, 0
	s_cbranch_execz .LBB3_944
	s_branch .LBB3_945
.LBB3_943:                              ;   in Loop: Header=BB3_910 Depth=2
	s_wait_xcnt 0x0
	s_add_nc_u64 s[2:3], s[20:21], 8
	s_mov_b32 s28, 0
.LBB3_944:                              ;   in Loop: Header=BB3_910 Depth=2
	global_load_b64 v[28:29], v1, s[20:21]
	s_add_co_i32 s28, s29, -8
.LBB3_945:                              ;   in Loop: Header=BB3_910 Depth=2
	s_delay_alu instid0(SALU_CYCLE_1)
	s_cmp_gt_u32 s28, 7
	s_cbranch_scc1 .LBB3_950
; %bb.946:                              ;   in Loop: Header=BB3_910 Depth=2
	v_mov_b64_e32 v[30:31], 0
	s_cmp_eq_u32 s28, 0
	s_cbranch_scc1 .LBB3_949
; %bb.947:                              ;   in Loop: Header=BB3_910 Depth=2
	s_wait_xcnt 0x0
	s_mov_b64 s[20:21], 0
	s_mov_b64 s[22:23], 0
.LBB3_948:                              ;   Parent Loop BB3_5 Depth=1
                                        ;     Parent Loop BB3_910 Depth=2
                                        ; =>    This Inner Loop Header: Depth=3
	s_wait_xcnt 0x0
	s_add_nc_u64 s[30:31], s[2:3], s[22:23]
	s_add_nc_u64 s[22:23], s[22:23], 1
	global_load_u8 v0, v1, s[30:31]
	s_cmp_lg_u32 s28, s22
	s_wait_loadcnt 0x0
	v_and_b32_e32 v0, 0xffff, v0
	s_delay_alu instid0(VALU_DEP_1) | instskip(SKIP_1) | instid1(VALU_DEP_1)
	v_lshlrev_b64_e32 v[32:33], s20, v[0:1]
	s_add_nc_u64 s[20:21], s[20:21], 8
	v_or_b32_e32 v30, v32, v30
	s_delay_alu instid0(VALU_DEP_2)
	v_or_b32_e32 v31, v33, v31
	s_cbranch_scc1 .LBB3_948
.LBB3_949:                              ;   in Loop: Header=BB3_910 Depth=2
	s_wait_xcnt 0x0
	s_mov_b64 s[20:21], s[2:3]
	s_mov_b32 s29, 0
	s_cbranch_execz .LBB3_951
	s_branch .LBB3_952
.LBB3_950:                              ;   in Loop: Header=BB3_910 Depth=2
	s_wait_xcnt 0x0
	s_add_nc_u64 s[20:21], s[2:3], 8
                                        ; implicit-def: $vgpr30_vgpr31
	s_mov_b32 s29, 0
.LBB3_951:                              ;   in Loop: Header=BB3_910 Depth=2
	global_load_b64 v[30:31], v1, s[2:3]
	s_add_co_i32 s29, s28, -8
.LBB3_952:                              ;   in Loop: Header=BB3_910 Depth=2
	s_delay_alu instid0(SALU_CYCLE_1)
	s_cmp_gt_u32 s29, 7
	s_cbranch_scc1 .LBB3_957
; %bb.953:                              ;   in Loop: Header=BB3_910 Depth=2
	v_mov_b64_e32 v[32:33], 0
	s_cmp_eq_u32 s29, 0
	s_cbranch_scc1 .LBB3_956
; %bb.954:                              ;   in Loop: Header=BB3_910 Depth=2
	s_wait_xcnt 0x0
	s_mov_b64 s[2:3], 0
	s_mov_b64 s[22:23], s[20:21]
.LBB3_955:                              ;   Parent Loop BB3_5 Depth=1
                                        ;     Parent Loop BB3_910 Depth=2
                                        ; =>    This Inner Loop Header: Depth=3
	global_load_u8 v0, v1, s[22:23]
	s_add_co_i32 s29, s29, -1
	s_wait_xcnt 0x0
	s_add_nc_u64 s[22:23], s[22:23], 1
	s_cmp_lg_u32 s29, 0
	s_wait_loadcnt 0x0
	v_and_b32_e32 v0, 0xffff, v0
	s_delay_alu instid0(VALU_DEP_1) | instskip(SKIP_1) | instid1(VALU_DEP_1)
	v_lshlrev_b64_e32 v[34:35], s2, v[0:1]
	s_add_nc_u64 s[2:3], s[2:3], 8
	v_or_b32_e32 v32, v34, v32
	s_delay_alu instid0(VALU_DEP_2)
	v_or_b32_e32 v33, v35, v33
	s_cbranch_scc1 .LBB3_955
.LBB3_956:                              ;   in Loop: Header=BB3_910 Depth=2
	s_wait_xcnt 0x0
	s_cbranch_execz .LBB3_958
	s_branch .LBB3_959
.LBB3_957:                              ;   in Loop: Header=BB3_910 Depth=2
	s_wait_xcnt 0x0
.LBB3_958:                              ;   in Loop: Header=BB3_910 Depth=2
	global_load_b64 v[32:33], v1, s[20:21]
.LBB3_959:                              ;   in Loop: Header=BB3_910 Depth=2
	v_readfirstlane_b32 s2, v40
	v_mov_b64_e32 v[52:53], 0
	s_delay_alu instid0(VALU_DEP_2)
	v_cmp_eq_u32_e64 s2, s2, v40
	s_wait_xcnt 0x0
	s_and_saveexec_b32 s3, s2
	s_cbranch_execz .LBB3_965
; %bb.960:                              ;   in Loop: Header=BB3_910 Depth=2
	global_load_b64 v[36:37], v1, s[10:11] offset:24 scope:SCOPE_SYS
	s_wait_loadcnt 0x0
	global_inv scope:SCOPE_SYS
	s_clause 0x1
	global_load_b64 v[34:35], v1, s[10:11] offset:40
	global_load_b64 v[52:53], v1, s[10:11]
	s_mov_b32 s20, exec_lo
	s_wait_loadcnt 0x1
	v_and_b32_e32 v34, v34, v36
	v_and_b32_e32 v35, v35, v37
	s_delay_alu instid0(VALU_DEP_1) | instskip(SKIP_1) | instid1(VALU_DEP_1)
	v_mul_u64_e32 v[34:35], 24, v[34:35]
	s_wait_loadcnt 0x0
	v_add_nc_u64_e32 v[34:35], v[52:53], v[34:35]
	global_load_b64 v[34:35], v[34:35], off scope:SCOPE_SYS
	s_wait_xcnt 0x0
	s_wait_loadcnt 0x0
	global_atomic_cmpswap_b64 v[52:53], v1, v[34:37], s[10:11] offset:24 th:TH_ATOMIC_RETURN scope:SCOPE_SYS
	s_wait_loadcnt 0x0
	global_inv scope:SCOPE_SYS
	s_wait_xcnt 0x0
	v_cmpx_ne_u64_e64 v[52:53], v[36:37]
	s_cbranch_execz .LBB3_964
; %bb.961:                              ;   in Loop: Header=BB3_910 Depth=2
	s_mov_b32 s21, 0
.LBB3_962:                              ;   Parent Loop BB3_5 Depth=1
                                        ;     Parent Loop BB3_910 Depth=2
                                        ; =>    This Inner Loop Header: Depth=3
	s_sleep 1
	s_clause 0x1
	global_load_b64 v[34:35], v1, s[10:11] offset:40
	global_load_b64 v[54:55], v1, s[10:11]
	v_mov_b64_e32 v[36:37], v[52:53]
	s_wait_loadcnt 0x1
	s_delay_alu instid0(VALU_DEP_1) | instskip(SKIP_1) | instid1(VALU_DEP_1)
	v_and_b32_e32 v0, v34, v36
	s_wait_loadcnt 0x0
	v_mad_nc_u64_u32 v[52:53], v0, 24, v[54:55]
	s_delay_alu instid0(VALU_DEP_3) | instskip(NEXT) | instid1(VALU_DEP_1)
	v_and_b32_e32 v0, v35, v37
	v_mad_u32 v53, v0, 24, v53
	global_load_b64 v[34:35], v[52:53], off scope:SCOPE_SYS
	s_wait_xcnt 0x0
	s_wait_loadcnt 0x0
	global_atomic_cmpswap_b64 v[52:53], v1, v[34:37], s[10:11] offset:24 th:TH_ATOMIC_RETURN scope:SCOPE_SYS
	s_wait_loadcnt 0x0
	global_inv scope:SCOPE_SYS
	v_cmp_eq_u64_e32 vcc_lo, v[52:53], v[36:37]
	s_or_b32 s21, vcc_lo, s21
	s_wait_xcnt 0x0
	s_and_not1_b32 exec_lo, exec_lo, s21
	s_cbranch_execnz .LBB3_962
; %bb.963:                              ;   in Loop: Header=BB3_910 Depth=2
	s_or_b32 exec_lo, exec_lo, s21
.LBB3_964:                              ;   in Loop: Header=BB3_910 Depth=2
	s_delay_alu instid0(SALU_CYCLE_1)
	s_or_b32 exec_lo, exec_lo, s20
.LBB3_965:                              ;   in Loop: Header=BB3_910 Depth=2
	s_delay_alu instid0(SALU_CYCLE_1)
	s_or_b32 exec_lo, exec_lo, s3
	s_clause 0x1
	global_load_b64 v[54:55], v1, s[10:11] offset:40
	global_load_b128 v[34:37], v1, s[10:11]
	v_readfirstlane_b32 s20, v52
	v_readfirstlane_b32 s21, v53
	s_mov_b32 s3, exec_lo
	s_wait_loadcnt 0x1
	v_and_b32_e32 v54, s20, v54
	v_and_b32_e32 v55, s21, v55
	s_delay_alu instid0(VALU_DEP_1) | instskip(SKIP_1) | instid1(VALU_DEP_1)
	v_mul_u64_e32 v[52:53], 24, v[54:55]
	s_wait_loadcnt 0x0
	v_add_nc_u64_e32 v[52:53], v[34:35], v[52:53]
	s_wait_xcnt 0x0
	s_and_saveexec_b32 s22, s2
	s_cbranch_execz .LBB3_967
; %bb.966:                              ;   in Loop: Header=BB3_910 Depth=2
	v_mov_b32_e32 v0, s3
	global_store_b128 v[52:53], v[0:3], off offset:8
.LBB3_967:                              ;   in Loop: Header=BB3_910 Depth=2
	s_wait_xcnt 0x0
	s_or_b32 exec_lo, exec_lo, s22
	v_cmp_lt_u64_e64 vcc_lo, s[16:17], 57
	v_lshlrev_b64_e32 v[54:55], 12, v[54:55]
	v_and_b32_e32 v5, 0xffffff1f, v16
	s_lshl_b32 s3, s18, 2
	s_delay_alu instid0(SALU_CYCLE_1) | instskip(SKIP_1) | instid1(VALU_DEP_3)
	s_add_co_i32 s3, s3, 28
	v_cndmask_b32_e32 v0, 0, v6, vcc_lo
	v_add_nc_u64_e32 v[36:37], v[36:37], v[54:55]
	s_delay_alu instid0(VALU_DEP_2) | instskip(NEXT) | instid1(VALU_DEP_2)
	v_or_b32_e32 v0, v5, v0
	v_readfirstlane_b32 s22, v36
	s_delay_alu instid0(VALU_DEP_3) | instskip(NEXT) | instid1(VALU_DEP_3)
	v_readfirstlane_b32 s23, v37
	v_and_or_b32 v16, 0x1e0, s3, v0
	s_clause 0x3
	global_store_b128 v42, v[16:19], s[22:23]
	global_store_b128 v42, v[22:25], s[22:23] offset:16
	global_store_b128 v42, v[26:29], s[22:23] offset:32
	;; [unrolled: 1-line block ×3, first 2 shown]
	s_wait_xcnt 0x0
	s_and_saveexec_b32 s3, s2
	s_cbranch_execz .LBB3_975
; %bb.968:                              ;   in Loop: Header=BB3_910 Depth=2
	s_clause 0x1
	global_load_b64 v[26:27], v1, s[10:11] offset:32 scope:SCOPE_SYS
	global_load_b64 v[16:17], v1, s[10:11] offset:40
	s_mov_b32 s22, exec_lo
	v_dual_mov_b32 v24, s20 :: v_dual_mov_b32 v25, s21
	s_wait_loadcnt 0x0
	v_and_b32_e32 v17, s21, v17
	v_and_b32_e32 v16, s20, v16
	s_delay_alu instid0(VALU_DEP_1) | instskip(NEXT) | instid1(VALU_DEP_1)
	v_mul_u64_e32 v[16:17], 24, v[16:17]
	v_add_nc_u64_e32 v[22:23], v[34:35], v[16:17]
	global_store_b64 v[22:23], v[26:27], off
	global_wb scope:SCOPE_SYS
	s_wait_storecnt 0x0
	s_wait_xcnt 0x0
	global_atomic_cmpswap_b64 v[18:19], v1, v[24:27], s[10:11] offset:32 th:TH_ATOMIC_RETURN scope:SCOPE_SYS
	s_wait_loadcnt 0x0
	v_cmpx_ne_u64_e64 v[18:19], v[26:27]
	s_cbranch_execz .LBB3_971
; %bb.969:                              ;   in Loop: Header=BB3_910 Depth=2
	s_mov_b32 s23, 0
.LBB3_970:                              ;   Parent Loop BB3_5 Depth=1
                                        ;     Parent Loop BB3_910 Depth=2
                                        ; =>    This Inner Loop Header: Depth=3
	v_dual_mov_b32 v16, s20 :: v_dual_mov_b32 v17, s21
	s_sleep 1
	global_store_b64 v[22:23], v[18:19], off
	global_wb scope:SCOPE_SYS
	s_wait_storecnt 0x0
	s_wait_xcnt 0x0
	global_atomic_cmpswap_b64 v[16:17], v1, v[16:19], s[10:11] offset:32 th:TH_ATOMIC_RETURN scope:SCOPE_SYS
	s_wait_loadcnt 0x0
	v_cmp_eq_u64_e32 vcc_lo, v[16:17], v[18:19]
	v_mov_b64_e32 v[18:19], v[16:17]
	s_or_b32 s23, vcc_lo, s23
	s_delay_alu instid0(SALU_CYCLE_1)
	s_and_not1_b32 exec_lo, exec_lo, s23
	s_cbranch_execnz .LBB3_970
.LBB3_971:                              ;   in Loop: Header=BB3_910 Depth=2
	s_or_b32 exec_lo, exec_lo, s22
	global_load_b64 v[16:17], v1, s[10:11] offset:16
	s_mov_b32 s23, exec_lo
	s_mov_b32 s22, exec_lo
	v_mbcnt_lo_u32_b32 v0, s23, 0
	s_wait_xcnt 0x0
	s_delay_alu instid0(VALU_DEP_1)
	v_cmpx_eq_u32_e32 0, v0
	s_cbranch_execz .LBB3_973
; %bb.972:                              ;   in Loop: Header=BB3_910 Depth=2
	s_bcnt1_i32_b32 s23, s23
	s_delay_alu instid0(SALU_CYCLE_1)
	v_mov_b32_e32 v0, s23
	global_wb scope:SCOPE_SYS
	s_wait_loadcnt 0x0
	s_wait_storecnt 0x0
	global_atomic_add_u64 v[16:17], v[0:1], off offset:8 scope:SCOPE_SYS
.LBB3_973:                              ;   in Loop: Header=BB3_910 Depth=2
	s_wait_xcnt 0x0
	s_or_b32 exec_lo, exec_lo, s22
	s_wait_loadcnt 0x0
	global_load_b64 v[18:19], v[16:17], off offset:16
	s_wait_loadcnt 0x0
	v_cmp_eq_u64_e32 vcc_lo, 0, v[18:19]
	s_cbranch_vccnz .LBB3_975
; %bb.974:                              ;   in Loop: Header=BB3_910 Depth=2
	global_load_b32 v0, v[16:17], off offset:24
	s_wait_loadcnt 0x0
	v_readfirstlane_b32 s22, v0
	global_wb scope:SCOPE_SYS
	s_wait_storecnt 0x0
	s_wait_xcnt 0x0
	global_store_b64 v[18:19], v[0:1], off scope:SCOPE_SYS
	s_and_b32 m0, s22, 0xffffff
	s_sendmsg sendmsg(MSG_INTERRUPT)
.LBB3_975:                              ;   in Loop: Header=BB3_910 Depth=2
	s_wait_xcnt 0x0
	s_or_b32 exec_lo, exec_lo, s3
	v_mov_b32_e32 v43, v1
	s_delay_alu instid0(VALU_DEP_1)
	v_add_nc_u64_e32 v[16:17], v[36:37], v[42:43]
	s_branch .LBB3_979
.LBB3_976:                              ;   in Loop: Header=BB3_979 Depth=3
	s_wait_xcnt 0x0
	s_or_b32 exec_lo, exec_lo, s3
	s_delay_alu instid0(VALU_DEP_1)
	v_readfirstlane_b32 s3, v0
	s_cmp_eq_u32 s3, 0
	s_cbranch_scc1 .LBB3_978
; %bb.977:                              ;   in Loop: Header=BB3_979 Depth=3
	s_sleep 1
	s_cbranch_execnz .LBB3_979
	s_branch .LBB3_981
.LBB3_978:                              ;   in Loop: Header=BB3_910 Depth=2
	s_branch .LBB3_981
.LBB3_979:                              ;   Parent Loop BB3_5 Depth=1
                                        ;     Parent Loop BB3_910 Depth=2
                                        ; =>    This Inner Loop Header: Depth=3
	v_mov_b32_e32 v0, 1
	s_and_saveexec_b32 s3, s2
	s_cbranch_execz .LBB3_976
; %bb.980:                              ;   in Loop: Header=BB3_979 Depth=3
	global_load_b32 v0, v[52:53], off offset:20 scope:SCOPE_SYS
	s_wait_loadcnt 0x0
	global_inv scope:SCOPE_SYS
	v_and_b32_e32 v0, 1, v0
	s_branch .LBB3_976
.LBB3_981:                              ;   in Loop: Header=BB3_910 Depth=2
	global_load_b64 v[16:17], v[16:17], off
	s_wait_xcnt 0x0
	s_and_saveexec_b32 s22, s2
	s_cbranch_execz .LBB3_909
; %bb.982:                              ;   in Loop: Header=BB3_910 Depth=2
	s_clause 0x2
	global_load_b64 v[18:19], v1, s[10:11] offset:40
	global_load_b64 v[26:27], v1, s[10:11] offset:24 scope:SCOPE_SYS
	global_load_b64 v[22:23], v1, s[10:11]
	s_wait_loadcnt 0x2
	v_readfirstlane_b32 s28, v18
	v_readfirstlane_b32 s29, v19
	s_add_nc_u64 s[2:3], s[28:29], 1
	s_delay_alu instid0(SALU_CYCLE_1) | instskip(NEXT) | instid1(SALU_CYCLE_1)
	s_add_nc_u64 s[20:21], s[2:3], s[20:21]
	s_cmp_eq_u64 s[20:21], 0
	s_cselect_b32 s3, s3, s21
	s_cselect_b32 s2, s2, s20
	s_delay_alu instid0(SALU_CYCLE_1) | instskip(SKIP_1) | instid1(SALU_CYCLE_1)
	v_dual_mov_b32 v25, s3 :: v_dual_mov_b32 v24, s2
	s_and_b64 s[20:21], s[2:3], s[28:29]
	s_mul_u64 s[20:21], s[20:21], 24
	s_wait_loadcnt 0x0
	v_add_nc_u64_e32 v[18:19], s[20:21], v[22:23]
	global_store_b64 v[18:19], v[26:27], off
	global_wb scope:SCOPE_SYS
	s_wait_storecnt 0x0
	s_wait_xcnt 0x0
	global_atomic_cmpswap_b64 v[24:25], v1, v[24:27], s[10:11] offset:24 th:TH_ATOMIC_RETURN scope:SCOPE_SYS
	s_wait_loadcnt 0x0
	v_cmp_ne_u64_e32 vcc_lo, v[24:25], v[26:27]
	s_and_b32 exec_lo, exec_lo, vcc_lo
	s_cbranch_execz .LBB3_909
; %bb.983:                              ;   in Loop: Header=BB3_910 Depth=2
	s_mov_b32 s20, 0
.LBB3_984:                              ;   Parent Loop BB3_5 Depth=1
                                        ;     Parent Loop BB3_910 Depth=2
                                        ; =>    This Inner Loop Header: Depth=3
	v_dual_mov_b32 v22, s2 :: v_dual_mov_b32 v23, s3
	s_sleep 1
	global_store_b64 v[18:19], v[24:25], off
	global_wb scope:SCOPE_SYS
	s_wait_storecnt 0x0
	s_wait_xcnt 0x0
	global_atomic_cmpswap_b64 v[22:23], v1, v[22:25], s[10:11] offset:24 th:TH_ATOMIC_RETURN scope:SCOPE_SYS
	s_wait_loadcnt 0x0
	v_cmp_eq_u64_e32 vcc_lo, v[22:23], v[24:25]
	v_mov_b64_e32 v[24:25], v[22:23]
	s_or_b32 s20, vcc_lo, s20
	s_delay_alu instid0(SALU_CYCLE_1)
	s_and_not1_b32 exec_lo, exec_lo, s20
	s_cbranch_execnz .LBB3_984
	s_branch .LBB3_909
.LBB3_985:                              ;   in Loop: Header=BB3_5 Depth=1
.LBB3_986:                              ;   in Loop: Header=BB3_5 Depth=1
	s_and_b32 vcc_lo, exec_lo, s26
	s_cbranch_vccz .LBB3_1093
.LBB3_987:                              ;   in Loop: Header=BB3_5 Depth=1
	s_wait_loadcnt 0x0
	v_dual_mov_b32 v19, v17 :: v_dual_bitop2_b32 v6, 2, v16 bitop3:0x40
	v_and_b32_e32 v18, -3, v16
	s_mov_b64 s[14:15], 56
	s_mov_b64 s[16:17], s[12:13]
	s_branch .LBB3_989
.LBB3_988:                              ;   in Loop: Header=BB3_989 Depth=2
	s_or_b32 exec_lo, exec_lo, s22
	s_sub_nc_u64 s[14:15], s[14:15], s[18:19]
	s_add_nc_u64 s[16:17], s[16:17], s[18:19]
	s_cmp_lg_u64 s[14:15], 0
	s_cbranch_scc0 .LBB3_1064
.LBB3_989:                              ;   Parent Loop BB3_5 Depth=1
                                        ; =>  This Loop Header: Depth=2
                                        ;       Child Loop BB3_992 Depth 3
                                        ;       Child Loop BB3_999 Depth 3
	;; [unrolled: 1-line block ×11, first 2 shown]
	v_min_u64 v[20:21], s[14:15], 56
	v_cmp_gt_u64_e64 s2, s[14:15], 7
	s_and_b32 vcc_lo, exec_lo, s2
	v_readfirstlane_b32 s18, v20
	v_readfirstlane_b32 s19, v21
	s_cbranch_vccnz .LBB3_994
; %bb.990:                              ;   in Loop: Header=BB3_989 Depth=2
	v_mov_b64_e32 v[20:21], 0
	s_cmp_eq_u64 s[14:15], 0
	s_cbranch_scc1 .LBB3_993
; %bb.991:                              ;   in Loop: Header=BB3_989 Depth=2
	s_mov_b64 s[2:3], 0
	s_mov_b64 s[20:21], 0
.LBB3_992:                              ;   Parent Loop BB3_5 Depth=1
                                        ;     Parent Loop BB3_989 Depth=2
                                        ; =>    This Inner Loop Header: Depth=3
	s_wait_xcnt 0x0
	s_add_nc_u64 s[22:23], s[16:17], s[20:21]
	s_add_nc_u64 s[20:21], s[20:21], 1
	global_load_u8 v0, v1, s[22:23]
	s_cmp_lg_u32 s18, s20
	s_wait_loadcnt 0x0
	v_and_b32_e32 v0, 0xffff, v0
	s_delay_alu instid0(VALU_DEP_1) | instskip(SKIP_1) | instid1(VALU_DEP_1)
	v_lshlrev_b64_e32 v[22:23], s2, v[0:1]
	s_add_nc_u64 s[2:3], s[2:3], 8
	v_or_b32_e32 v20, v22, v20
	s_delay_alu instid0(VALU_DEP_2)
	v_or_b32_e32 v21, v23, v21
	s_cbranch_scc1 .LBB3_992
.LBB3_993:                              ;   in Loop: Header=BB3_989 Depth=2
	s_mov_b64 s[2:3], s[16:17]
	s_mov_b32 s28, 0
	s_cbranch_execz .LBB3_995
	s_branch .LBB3_996
.LBB3_994:                              ;   in Loop: Header=BB3_989 Depth=2
	s_add_nc_u64 s[2:3], s[16:17], 8
	s_mov_b32 s28, 0
.LBB3_995:                              ;   in Loop: Header=BB3_989 Depth=2
	global_load_b64 v[20:21], v1, s[16:17]
	s_add_co_i32 s28, s18, -8
.LBB3_996:                              ;   in Loop: Header=BB3_989 Depth=2
	s_delay_alu instid0(SALU_CYCLE_1)
	s_cmp_gt_u32 s28, 7
	s_cbranch_scc1 .LBB3_1001
; %bb.997:                              ;   in Loop: Header=BB3_989 Depth=2
	v_mov_b64_e32 v[22:23], 0
	s_cmp_eq_u32 s28, 0
	s_cbranch_scc1 .LBB3_1000
; %bb.998:                              ;   in Loop: Header=BB3_989 Depth=2
	s_mov_b64 s[20:21], 0
	s_wait_xcnt 0x0
	s_mov_b64 s[22:23], 0
.LBB3_999:                              ;   Parent Loop BB3_5 Depth=1
                                        ;     Parent Loop BB3_989 Depth=2
                                        ; =>    This Inner Loop Header: Depth=3
	s_wait_xcnt 0x0
	s_add_nc_u64 s[30:31], s[2:3], s[22:23]
	s_add_nc_u64 s[22:23], s[22:23], 1
	global_load_u8 v0, v1, s[30:31]
	s_cmp_lg_u32 s28, s22
	s_wait_loadcnt 0x0
	v_and_b32_e32 v0, 0xffff, v0
	s_delay_alu instid0(VALU_DEP_1) | instskip(SKIP_1) | instid1(VALU_DEP_1)
	v_lshlrev_b64_e32 v[24:25], s20, v[0:1]
	s_add_nc_u64 s[20:21], s[20:21], 8
	v_or_b32_e32 v22, v24, v22
	s_delay_alu instid0(VALU_DEP_2)
	v_or_b32_e32 v23, v25, v23
	s_cbranch_scc1 .LBB3_999
.LBB3_1000:                             ;   in Loop: Header=BB3_989 Depth=2
	s_wait_xcnt 0x0
	s_mov_b64 s[20:21], s[2:3]
	s_mov_b32 s29, 0
	s_cbranch_execz .LBB3_1002
	s_branch .LBB3_1003
.LBB3_1001:                             ;   in Loop: Header=BB3_989 Depth=2
	s_add_nc_u64 s[20:21], s[2:3], 8
	s_wait_xcnt 0x0
                                        ; implicit-def: $vgpr22_vgpr23
	s_mov_b32 s29, 0
.LBB3_1002:                             ;   in Loop: Header=BB3_989 Depth=2
	global_load_b64 v[22:23], v1, s[2:3]
	s_add_co_i32 s29, s28, -8
.LBB3_1003:                             ;   in Loop: Header=BB3_989 Depth=2
	s_delay_alu instid0(SALU_CYCLE_1)
	s_cmp_gt_u32 s29, 7
	s_cbranch_scc1 .LBB3_1008
; %bb.1004:                             ;   in Loop: Header=BB3_989 Depth=2
	v_mov_b64_e32 v[24:25], 0
	s_cmp_eq_u32 s29, 0
	s_cbranch_scc1 .LBB3_1007
; %bb.1005:                             ;   in Loop: Header=BB3_989 Depth=2
	s_wait_xcnt 0x0
	s_mov_b64 s[2:3], 0
	s_mov_b64 s[22:23], 0
.LBB3_1006:                             ;   Parent Loop BB3_5 Depth=1
                                        ;     Parent Loop BB3_989 Depth=2
                                        ; =>    This Inner Loop Header: Depth=3
	s_wait_xcnt 0x0
	s_add_nc_u64 s[30:31], s[20:21], s[22:23]
	s_add_nc_u64 s[22:23], s[22:23], 1
	global_load_u8 v0, v1, s[30:31]
	s_cmp_lg_u32 s29, s22
	s_wait_loadcnt 0x0
	v_and_b32_e32 v0, 0xffff, v0
	s_delay_alu instid0(VALU_DEP_1) | instskip(SKIP_1) | instid1(VALU_DEP_1)
	v_lshlrev_b64_e32 v[26:27], s2, v[0:1]
	s_add_nc_u64 s[2:3], s[2:3], 8
	v_or_b32_e32 v24, v26, v24
	s_delay_alu instid0(VALU_DEP_2)
	v_or_b32_e32 v25, v27, v25
	s_cbranch_scc1 .LBB3_1006
.LBB3_1007:                             ;   in Loop: Header=BB3_989 Depth=2
	s_wait_xcnt 0x0
	s_mov_b64 s[2:3], s[20:21]
	s_mov_b32 s28, 0
	s_cbranch_execz .LBB3_1009
	s_branch .LBB3_1010
.LBB3_1008:                             ;   in Loop: Header=BB3_989 Depth=2
	s_wait_xcnt 0x0
	s_add_nc_u64 s[2:3], s[20:21], 8
	s_mov_b32 s28, 0
.LBB3_1009:                             ;   in Loop: Header=BB3_989 Depth=2
	global_load_b64 v[24:25], v1, s[20:21]
	s_add_co_i32 s28, s29, -8
.LBB3_1010:                             ;   in Loop: Header=BB3_989 Depth=2
	s_delay_alu instid0(SALU_CYCLE_1)
	s_cmp_gt_u32 s28, 7
	s_cbranch_scc1 .LBB3_1015
; %bb.1011:                             ;   in Loop: Header=BB3_989 Depth=2
	v_mov_b64_e32 v[26:27], 0
	s_cmp_eq_u32 s28, 0
	s_cbranch_scc1 .LBB3_1014
; %bb.1012:                             ;   in Loop: Header=BB3_989 Depth=2
	s_wait_xcnt 0x0
	s_mov_b64 s[20:21], 0
	s_mov_b64 s[22:23], 0
.LBB3_1013:                             ;   Parent Loop BB3_5 Depth=1
                                        ;     Parent Loop BB3_989 Depth=2
                                        ; =>    This Inner Loop Header: Depth=3
	s_wait_xcnt 0x0
	s_add_nc_u64 s[30:31], s[2:3], s[22:23]
	s_add_nc_u64 s[22:23], s[22:23], 1
	global_load_u8 v0, v1, s[30:31]
	s_cmp_lg_u32 s28, s22
	s_wait_loadcnt 0x0
	v_and_b32_e32 v0, 0xffff, v0
	s_delay_alu instid0(VALU_DEP_1) | instskip(SKIP_1) | instid1(VALU_DEP_1)
	v_lshlrev_b64_e32 v[28:29], s20, v[0:1]
	s_add_nc_u64 s[20:21], s[20:21], 8
	v_or_b32_e32 v26, v28, v26
	s_delay_alu instid0(VALU_DEP_2)
	v_or_b32_e32 v27, v29, v27
	s_cbranch_scc1 .LBB3_1013
.LBB3_1014:                             ;   in Loop: Header=BB3_989 Depth=2
	s_wait_xcnt 0x0
	s_mov_b64 s[20:21], s[2:3]
	s_mov_b32 s29, 0
	s_cbranch_execz .LBB3_1016
	s_branch .LBB3_1017
.LBB3_1015:                             ;   in Loop: Header=BB3_989 Depth=2
	s_wait_xcnt 0x0
	s_add_nc_u64 s[20:21], s[2:3], 8
                                        ; implicit-def: $vgpr26_vgpr27
	s_mov_b32 s29, 0
.LBB3_1016:                             ;   in Loop: Header=BB3_989 Depth=2
	global_load_b64 v[26:27], v1, s[2:3]
	s_add_co_i32 s29, s28, -8
.LBB3_1017:                             ;   in Loop: Header=BB3_989 Depth=2
	s_delay_alu instid0(SALU_CYCLE_1)
	s_cmp_gt_u32 s29, 7
	s_cbranch_scc1 .LBB3_1022
; %bb.1018:                             ;   in Loop: Header=BB3_989 Depth=2
	v_mov_b64_e32 v[28:29], 0
	s_cmp_eq_u32 s29, 0
	s_cbranch_scc1 .LBB3_1021
; %bb.1019:                             ;   in Loop: Header=BB3_989 Depth=2
	s_wait_xcnt 0x0
	s_mov_b64 s[2:3], 0
	s_mov_b64 s[22:23], 0
.LBB3_1020:                             ;   Parent Loop BB3_5 Depth=1
                                        ;     Parent Loop BB3_989 Depth=2
                                        ; =>    This Inner Loop Header: Depth=3
	s_wait_xcnt 0x0
	s_add_nc_u64 s[30:31], s[20:21], s[22:23]
	s_add_nc_u64 s[22:23], s[22:23], 1
	global_load_u8 v0, v1, s[30:31]
	s_cmp_lg_u32 s29, s22
	s_wait_loadcnt 0x0
	v_and_b32_e32 v0, 0xffff, v0
	s_delay_alu instid0(VALU_DEP_1) | instskip(SKIP_1) | instid1(VALU_DEP_1)
	v_lshlrev_b64_e32 v[30:31], s2, v[0:1]
	s_add_nc_u64 s[2:3], s[2:3], 8
	v_or_b32_e32 v28, v30, v28
	s_delay_alu instid0(VALU_DEP_2)
	v_or_b32_e32 v29, v31, v29
	s_cbranch_scc1 .LBB3_1020
.LBB3_1021:                             ;   in Loop: Header=BB3_989 Depth=2
	s_wait_xcnt 0x0
	s_mov_b64 s[2:3], s[20:21]
	s_mov_b32 s28, 0
	s_cbranch_execz .LBB3_1023
	s_branch .LBB3_1024
.LBB3_1022:                             ;   in Loop: Header=BB3_989 Depth=2
	s_wait_xcnt 0x0
	s_add_nc_u64 s[2:3], s[20:21], 8
	s_mov_b32 s28, 0
.LBB3_1023:                             ;   in Loop: Header=BB3_989 Depth=2
	global_load_b64 v[28:29], v1, s[20:21]
	s_add_co_i32 s28, s29, -8
.LBB3_1024:                             ;   in Loop: Header=BB3_989 Depth=2
	s_delay_alu instid0(SALU_CYCLE_1)
	s_cmp_gt_u32 s28, 7
	s_cbranch_scc1 .LBB3_1029
; %bb.1025:                             ;   in Loop: Header=BB3_989 Depth=2
	v_mov_b64_e32 v[30:31], 0
	s_cmp_eq_u32 s28, 0
	s_cbranch_scc1 .LBB3_1028
; %bb.1026:                             ;   in Loop: Header=BB3_989 Depth=2
	s_wait_xcnt 0x0
	s_mov_b64 s[20:21], 0
	s_mov_b64 s[22:23], 0
.LBB3_1027:                             ;   Parent Loop BB3_5 Depth=1
                                        ;     Parent Loop BB3_989 Depth=2
                                        ; =>    This Inner Loop Header: Depth=3
	s_wait_xcnt 0x0
	s_add_nc_u64 s[30:31], s[2:3], s[22:23]
	s_add_nc_u64 s[22:23], s[22:23], 1
	global_load_u8 v0, v1, s[30:31]
	s_cmp_lg_u32 s28, s22
	s_wait_loadcnt 0x0
	v_and_b32_e32 v0, 0xffff, v0
	s_delay_alu instid0(VALU_DEP_1) | instskip(SKIP_1) | instid1(VALU_DEP_1)
	v_lshlrev_b64_e32 v[32:33], s20, v[0:1]
	s_add_nc_u64 s[20:21], s[20:21], 8
	v_or_b32_e32 v30, v32, v30
	s_delay_alu instid0(VALU_DEP_2)
	v_or_b32_e32 v31, v33, v31
	s_cbranch_scc1 .LBB3_1027
.LBB3_1028:                             ;   in Loop: Header=BB3_989 Depth=2
	s_wait_xcnt 0x0
	s_mov_b64 s[20:21], s[2:3]
	s_mov_b32 s29, 0
	s_cbranch_execz .LBB3_1030
	s_branch .LBB3_1031
.LBB3_1029:                             ;   in Loop: Header=BB3_989 Depth=2
	s_wait_xcnt 0x0
	s_add_nc_u64 s[20:21], s[2:3], 8
                                        ; implicit-def: $vgpr30_vgpr31
	s_mov_b32 s29, 0
.LBB3_1030:                             ;   in Loop: Header=BB3_989 Depth=2
	global_load_b64 v[30:31], v1, s[2:3]
	s_add_co_i32 s29, s28, -8
.LBB3_1031:                             ;   in Loop: Header=BB3_989 Depth=2
	s_delay_alu instid0(SALU_CYCLE_1)
	s_cmp_gt_u32 s29, 7
	s_cbranch_scc1 .LBB3_1036
; %bb.1032:                             ;   in Loop: Header=BB3_989 Depth=2
	v_mov_b64_e32 v[32:33], 0
	s_cmp_eq_u32 s29, 0
	s_cbranch_scc1 .LBB3_1035
; %bb.1033:                             ;   in Loop: Header=BB3_989 Depth=2
	s_wait_xcnt 0x0
	s_mov_b64 s[2:3], 0
	s_mov_b64 s[22:23], s[20:21]
.LBB3_1034:                             ;   Parent Loop BB3_5 Depth=1
                                        ;     Parent Loop BB3_989 Depth=2
                                        ; =>    This Inner Loop Header: Depth=3
	global_load_u8 v0, v1, s[22:23]
	s_add_co_i32 s29, s29, -1
	s_wait_xcnt 0x0
	s_add_nc_u64 s[22:23], s[22:23], 1
	s_cmp_lg_u32 s29, 0
	s_wait_loadcnt 0x0
	v_and_b32_e32 v0, 0xffff, v0
	s_delay_alu instid0(VALU_DEP_1) | instskip(SKIP_1) | instid1(VALU_DEP_1)
	v_lshlrev_b64_e32 v[34:35], s2, v[0:1]
	s_add_nc_u64 s[2:3], s[2:3], 8
	v_or_b32_e32 v32, v34, v32
	s_delay_alu instid0(VALU_DEP_2)
	v_or_b32_e32 v33, v35, v33
	s_cbranch_scc1 .LBB3_1034
.LBB3_1035:                             ;   in Loop: Header=BB3_989 Depth=2
	s_wait_xcnt 0x0
	s_cbranch_execz .LBB3_1037
	s_branch .LBB3_1038
.LBB3_1036:                             ;   in Loop: Header=BB3_989 Depth=2
	s_wait_xcnt 0x0
.LBB3_1037:                             ;   in Loop: Header=BB3_989 Depth=2
	global_load_b64 v[32:33], v1, s[20:21]
.LBB3_1038:                             ;   in Loop: Header=BB3_989 Depth=2
	v_readfirstlane_b32 s2, v40
	v_mov_b64_e32 v[52:53], 0
	s_delay_alu instid0(VALU_DEP_2)
	v_cmp_eq_u32_e64 s2, s2, v40
	s_wait_xcnt 0x0
	s_and_saveexec_b32 s3, s2
	s_cbranch_execz .LBB3_1044
; %bb.1039:                             ;   in Loop: Header=BB3_989 Depth=2
	global_load_b64 v[36:37], v1, s[10:11] offset:24 scope:SCOPE_SYS
	s_wait_loadcnt 0x0
	global_inv scope:SCOPE_SYS
	s_clause 0x1
	global_load_b64 v[34:35], v1, s[10:11] offset:40
	global_load_b64 v[52:53], v1, s[10:11]
	s_mov_b32 s20, exec_lo
	s_wait_loadcnt 0x1
	v_and_b32_e32 v34, v34, v36
	v_and_b32_e32 v35, v35, v37
	s_delay_alu instid0(VALU_DEP_1) | instskip(SKIP_1) | instid1(VALU_DEP_1)
	v_mul_u64_e32 v[34:35], 24, v[34:35]
	s_wait_loadcnt 0x0
	v_add_nc_u64_e32 v[34:35], v[52:53], v[34:35]
	global_load_b64 v[34:35], v[34:35], off scope:SCOPE_SYS
	s_wait_xcnt 0x0
	s_wait_loadcnt 0x0
	global_atomic_cmpswap_b64 v[52:53], v1, v[34:37], s[10:11] offset:24 th:TH_ATOMIC_RETURN scope:SCOPE_SYS
	s_wait_loadcnt 0x0
	global_inv scope:SCOPE_SYS
	s_wait_xcnt 0x0
	v_cmpx_ne_u64_e64 v[52:53], v[36:37]
	s_cbranch_execz .LBB3_1043
; %bb.1040:                             ;   in Loop: Header=BB3_989 Depth=2
	s_mov_b32 s21, 0
.LBB3_1041:                             ;   Parent Loop BB3_5 Depth=1
                                        ;     Parent Loop BB3_989 Depth=2
                                        ; =>    This Inner Loop Header: Depth=3
	s_sleep 1
	s_clause 0x1
	global_load_b64 v[34:35], v1, s[10:11] offset:40
	global_load_b64 v[54:55], v1, s[10:11]
	v_mov_b64_e32 v[36:37], v[52:53]
	s_wait_loadcnt 0x1
	s_delay_alu instid0(VALU_DEP_1) | instskip(SKIP_1) | instid1(VALU_DEP_1)
	v_and_b32_e32 v0, v34, v36
	s_wait_loadcnt 0x0
	v_mad_nc_u64_u32 v[52:53], v0, 24, v[54:55]
	s_delay_alu instid0(VALU_DEP_3) | instskip(NEXT) | instid1(VALU_DEP_1)
	v_and_b32_e32 v0, v35, v37
	v_mad_u32 v53, v0, 24, v53
	global_load_b64 v[34:35], v[52:53], off scope:SCOPE_SYS
	s_wait_xcnt 0x0
	s_wait_loadcnt 0x0
	global_atomic_cmpswap_b64 v[52:53], v1, v[34:37], s[10:11] offset:24 th:TH_ATOMIC_RETURN scope:SCOPE_SYS
	s_wait_loadcnt 0x0
	global_inv scope:SCOPE_SYS
	v_cmp_eq_u64_e32 vcc_lo, v[52:53], v[36:37]
	s_or_b32 s21, vcc_lo, s21
	s_wait_xcnt 0x0
	s_and_not1_b32 exec_lo, exec_lo, s21
	s_cbranch_execnz .LBB3_1041
; %bb.1042:                             ;   in Loop: Header=BB3_989 Depth=2
	s_or_b32 exec_lo, exec_lo, s21
.LBB3_1043:                             ;   in Loop: Header=BB3_989 Depth=2
	s_delay_alu instid0(SALU_CYCLE_1)
	s_or_b32 exec_lo, exec_lo, s20
.LBB3_1044:                             ;   in Loop: Header=BB3_989 Depth=2
	s_delay_alu instid0(SALU_CYCLE_1)
	s_or_b32 exec_lo, exec_lo, s3
	s_clause 0x1
	global_load_b64 v[54:55], v1, s[10:11] offset:40
	global_load_b128 v[34:37], v1, s[10:11]
	v_readfirstlane_b32 s20, v52
	v_readfirstlane_b32 s21, v53
	s_mov_b32 s3, exec_lo
	s_wait_loadcnt 0x1
	v_and_b32_e32 v54, s20, v54
	v_and_b32_e32 v55, s21, v55
	s_delay_alu instid0(VALU_DEP_1) | instskip(SKIP_1) | instid1(VALU_DEP_1)
	v_mul_u64_e32 v[52:53], 24, v[54:55]
	s_wait_loadcnt 0x0
	v_add_nc_u64_e32 v[52:53], v[34:35], v[52:53]
	s_wait_xcnt 0x0
	s_and_saveexec_b32 s22, s2
	s_cbranch_execz .LBB3_1046
; %bb.1045:                             ;   in Loop: Header=BB3_989 Depth=2
	v_mov_b32_e32 v0, s3
	global_store_b128 v[52:53], v[0:3], off offset:8
.LBB3_1046:                             ;   in Loop: Header=BB3_989 Depth=2
	s_wait_xcnt 0x0
	s_or_b32 exec_lo, exec_lo, s22
	v_cmp_lt_u64_e64 vcc_lo, s[14:15], 57
	v_lshlrev_b64_e32 v[54:55], 12, v[54:55]
	v_and_b32_e32 v5, 0xffffff1f, v18
	s_lshl_b32 s3, s18, 2
	s_delay_alu instid0(SALU_CYCLE_1) | instskip(SKIP_1) | instid1(VALU_DEP_3)
	s_add_co_i32 s3, s3, 28
	v_cndmask_b32_e32 v0, 0, v6, vcc_lo
	v_add_nc_u64_e32 v[36:37], v[36:37], v[54:55]
	s_delay_alu instid0(VALU_DEP_2) | instskip(NEXT) | instid1(VALU_DEP_2)
	v_or_b32_e32 v0, v5, v0
	v_readfirstlane_b32 s22, v36
	s_delay_alu instid0(VALU_DEP_3) | instskip(NEXT) | instid1(VALU_DEP_3)
	v_readfirstlane_b32 s23, v37
	v_and_or_b32 v18, 0x1e0, s3, v0
	s_clause 0x3
	global_store_b128 v42, v[18:21], s[22:23]
	global_store_b128 v42, v[22:25], s[22:23] offset:16
	global_store_b128 v42, v[26:29], s[22:23] offset:32
	;; [unrolled: 1-line block ×3, first 2 shown]
	s_wait_xcnt 0x0
	s_and_saveexec_b32 s3, s2
	s_cbranch_execz .LBB3_1054
; %bb.1047:                             ;   in Loop: Header=BB3_989 Depth=2
	s_clause 0x1
	global_load_b64 v[26:27], v1, s[10:11] offset:32 scope:SCOPE_SYS
	global_load_b64 v[18:19], v1, s[10:11] offset:40
	s_mov_b32 s22, exec_lo
	v_dual_mov_b32 v24, s20 :: v_dual_mov_b32 v25, s21
	s_wait_loadcnt 0x0
	v_and_b32_e32 v19, s21, v19
	v_and_b32_e32 v18, s20, v18
	s_delay_alu instid0(VALU_DEP_1) | instskip(NEXT) | instid1(VALU_DEP_1)
	v_mul_u64_e32 v[18:19], 24, v[18:19]
	v_add_nc_u64_e32 v[22:23], v[34:35], v[18:19]
	global_store_b64 v[22:23], v[26:27], off
	global_wb scope:SCOPE_SYS
	s_wait_storecnt 0x0
	s_wait_xcnt 0x0
	global_atomic_cmpswap_b64 v[20:21], v1, v[24:27], s[10:11] offset:32 th:TH_ATOMIC_RETURN scope:SCOPE_SYS
	s_wait_loadcnt 0x0
	v_cmpx_ne_u64_e64 v[20:21], v[26:27]
	s_cbranch_execz .LBB3_1050
; %bb.1048:                             ;   in Loop: Header=BB3_989 Depth=2
	s_mov_b32 s23, 0
.LBB3_1049:                             ;   Parent Loop BB3_5 Depth=1
                                        ;     Parent Loop BB3_989 Depth=2
                                        ; =>    This Inner Loop Header: Depth=3
	v_dual_mov_b32 v18, s20 :: v_dual_mov_b32 v19, s21
	s_sleep 1
	global_store_b64 v[22:23], v[20:21], off
	global_wb scope:SCOPE_SYS
	s_wait_storecnt 0x0
	s_wait_xcnt 0x0
	global_atomic_cmpswap_b64 v[18:19], v1, v[18:21], s[10:11] offset:32 th:TH_ATOMIC_RETURN scope:SCOPE_SYS
	s_wait_loadcnt 0x0
	v_cmp_eq_u64_e32 vcc_lo, v[18:19], v[20:21]
	v_mov_b64_e32 v[20:21], v[18:19]
	s_or_b32 s23, vcc_lo, s23
	s_delay_alu instid0(SALU_CYCLE_1)
	s_and_not1_b32 exec_lo, exec_lo, s23
	s_cbranch_execnz .LBB3_1049
.LBB3_1050:                             ;   in Loop: Header=BB3_989 Depth=2
	s_or_b32 exec_lo, exec_lo, s22
	global_load_b64 v[18:19], v1, s[10:11] offset:16
	s_mov_b32 s23, exec_lo
	s_mov_b32 s22, exec_lo
	v_mbcnt_lo_u32_b32 v0, s23, 0
	s_wait_xcnt 0x0
	s_delay_alu instid0(VALU_DEP_1)
	v_cmpx_eq_u32_e32 0, v0
	s_cbranch_execz .LBB3_1052
; %bb.1051:                             ;   in Loop: Header=BB3_989 Depth=2
	s_bcnt1_i32_b32 s23, s23
	s_delay_alu instid0(SALU_CYCLE_1)
	v_mov_b32_e32 v0, s23
	global_wb scope:SCOPE_SYS
	s_wait_loadcnt 0x0
	s_wait_storecnt 0x0
	global_atomic_add_u64 v[18:19], v[0:1], off offset:8 scope:SCOPE_SYS
.LBB3_1052:                             ;   in Loop: Header=BB3_989 Depth=2
	s_wait_xcnt 0x0
	s_or_b32 exec_lo, exec_lo, s22
	s_wait_loadcnt 0x0
	global_load_b64 v[20:21], v[18:19], off offset:16
	s_wait_loadcnt 0x0
	v_cmp_eq_u64_e32 vcc_lo, 0, v[20:21]
	s_cbranch_vccnz .LBB3_1054
; %bb.1053:                             ;   in Loop: Header=BB3_989 Depth=2
	global_load_b32 v0, v[18:19], off offset:24
	s_wait_loadcnt 0x0
	v_readfirstlane_b32 s22, v0
	global_wb scope:SCOPE_SYS
	s_wait_storecnt 0x0
	s_wait_xcnt 0x0
	global_store_b64 v[20:21], v[0:1], off scope:SCOPE_SYS
	s_and_b32 m0, s22, 0xffffff
	s_sendmsg sendmsg(MSG_INTERRUPT)
.LBB3_1054:                             ;   in Loop: Header=BB3_989 Depth=2
	s_wait_xcnt 0x0
	s_or_b32 exec_lo, exec_lo, s3
	v_mov_b32_e32 v43, v1
	s_delay_alu instid0(VALU_DEP_1)
	v_add_nc_u64_e32 v[18:19], v[36:37], v[42:43]
	s_branch .LBB3_1058
.LBB3_1055:                             ;   in Loop: Header=BB3_1058 Depth=3
	s_wait_xcnt 0x0
	s_or_b32 exec_lo, exec_lo, s3
	s_delay_alu instid0(VALU_DEP_1)
	v_readfirstlane_b32 s3, v0
	s_cmp_eq_u32 s3, 0
	s_cbranch_scc1 .LBB3_1057
; %bb.1056:                             ;   in Loop: Header=BB3_1058 Depth=3
	s_sleep 1
	s_cbranch_execnz .LBB3_1058
	s_branch .LBB3_1060
.LBB3_1057:                             ;   in Loop: Header=BB3_989 Depth=2
	s_branch .LBB3_1060
.LBB3_1058:                             ;   Parent Loop BB3_5 Depth=1
                                        ;     Parent Loop BB3_989 Depth=2
                                        ; =>    This Inner Loop Header: Depth=3
	v_mov_b32_e32 v0, 1
	s_and_saveexec_b32 s3, s2
	s_cbranch_execz .LBB3_1055
; %bb.1059:                             ;   in Loop: Header=BB3_1058 Depth=3
	global_load_b32 v0, v[52:53], off offset:20 scope:SCOPE_SYS
	s_wait_loadcnt 0x0
	global_inv scope:SCOPE_SYS
	v_and_b32_e32 v0, 1, v0
	s_branch .LBB3_1055
.LBB3_1060:                             ;   in Loop: Header=BB3_989 Depth=2
	global_load_b64 v[18:19], v[18:19], off
	s_wait_xcnt 0x0
	s_and_saveexec_b32 s22, s2
	s_cbranch_execz .LBB3_988
; %bb.1061:                             ;   in Loop: Header=BB3_989 Depth=2
	s_clause 0x2
	global_load_b64 v[20:21], v1, s[10:11] offset:40
	global_load_b64 v[28:29], v1, s[10:11] offset:24 scope:SCOPE_SYS
	global_load_b64 v[22:23], v1, s[10:11]
	s_wait_loadcnt 0x2
	v_readfirstlane_b32 s28, v20
	v_readfirstlane_b32 s29, v21
	s_add_nc_u64 s[2:3], s[28:29], 1
	s_delay_alu instid0(SALU_CYCLE_1) | instskip(NEXT) | instid1(SALU_CYCLE_1)
	s_add_nc_u64 s[20:21], s[2:3], s[20:21]
	s_cmp_eq_u64 s[20:21], 0
	s_cselect_b32 s3, s3, s21
	s_cselect_b32 s2, s2, s20
	s_delay_alu instid0(SALU_CYCLE_1) | instskip(SKIP_1) | instid1(SALU_CYCLE_1)
	v_dual_mov_b32 v27, s3 :: v_dual_mov_b32 v26, s2
	s_and_b64 s[20:21], s[2:3], s[28:29]
	s_mul_u64 s[20:21], s[20:21], 24
	s_wait_loadcnt 0x0
	v_add_nc_u64_e32 v[24:25], s[20:21], v[22:23]
	global_store_b64 v[24:25], v[28:29], off
	global_wb scope:SCOPE_SYS
	s_wait_storecnt 0x0
	s_wait_xcnt 0x0
	global_atomic_cmpswap_b64 v[22:23], v1, v[26:29], s[10:11] offset:24 th:TH_ATOMIC_RETURN scope:SCOPE_SYS
	s_wait_loadcnt 0x0
	v_cmp_ne_u64_e32 vcc_lo, v[22:23], v[28:29]
	s_and_b32 exec_lo, exec_lo, vcc_lo
	s_cbranch_execz .LBB3_988
; %bb.1062:                             ;   in Loop: Header=BB3_989 Depth=2
	s_mov_b32 s20, 0
.LBB3_1063:                             ;   Parent Loop BB3_5 Depth=1
                                        ;     Parent Loop BB3_989 Depth=2
                                        ; =>    This Inner Loop Header: Depth=3
	v_dual_mov_b32 v20, s2 :: v_dual_mov_b32 v21, s3
	s_sleep 1
	global_store_b64 v[24:25], v[22:23], off
	global_wb scope:SCOPE_SYS
	s_wait_storecnt 0x0
	s_wait_xcnt 0x0
	global_atomic_cmpswap_b64 v[20:21], v1, v[20:23], s[10:11] offset:24 th:TH_ATOMIC_RETURN scope:SCOPE_SYS
	s_wait_loadcnt 0x0
	v_cmp_eq_u64_e32 vcc_lo, v[20:21], v[22:23]
	v_mov_b64_e32 v[22:23], v[20:21]
	s_or_b32 s20, vcc_lo, s20
	s_delay_alu instid0(SALU_CYCLE_1)
	s_and_not1_b32 exec_lo, exec_lo, s20
	s_cbranch_execnz .LBB3_1063
	s_branch .LBB3_988
.LBB3_1064:                             ;   in Loop: Header=BB3_5 Depth=1
	s_branch .LBB3_1121
.LBB3_1065:                             ;   in Loop: Header=BB3_5 Depth=1
                                        ; implicit-def: $vgpr16_vgpr17
	s_cbranch_execz .LBB3_986
; %bb.1066:                             ;   in Loop: Header=BB3_5 Depth=1
	v_readfirstlane_b32 s2, v40
	v_mov_b64_e32 v[6:7], 0
	s_delay_alu instid0(VALU_DEP_2)
	v_cmp_eq_u32_e64 s2, s2, v40
	s_and_saveexec_b32 s3, s2
	s_cbranch_execz .LBB3_1072
; %bb.1067:                             ;   in Loop: Header=BB3_5 Depth=1
	global_load_b64 v[18:19], v1, s[10:11] offset:24 scope:SCOPE_SYS
	s_wait_loadcnt 0x0
	global_inv scope:SCOPE_SYS
	s_clause 0x1
	global_load_b64 v[6:7], v1, s[10:11] offset:40
	global_load_b64 v[16:17], v1, s[10:11]
	s_mov_b32 s14, exec_lo
	s_wait_loadcnt 0x1
	v_and_b32_e32 v6, v6, v18
	v_and_b32_e32 v7, v7, v19
	s_delay_alu instid0(VALU_DEP_1) | instskip(SKIP_1) | instid1(VALU_DEP_1)
	v_mul_u64_e32 v[6:7], 24, v[6:7]
	s_wait_loadcnt 0x0
	v_add_nc_u64_e32 v[6:7], v[16:17], v[6:7]
	global_load_b64 v[16:17], v[6:7], off scope:SCOPE_SYS
	s_wait_xcnt 0x0
	s_wait_loadcnt 0x0
	global_atomic_cmpswap_b64 v[6:7], v1, v[16:19], s[10:11] offset:24 th:TH_ATOMIC_RETURN scope:SCOPE_SYS
	s_wait_loadcnt 0x0
	global_inv scope:SCOPE_SYS
	s_wait_xcnt 0x0
	v_cmpx_ne_u64_e64 v[6:7], v[18:19]
	s_cbranch_execz .LBB3_1071
; %bb.1068:                             ;   in Loop: Header=BB3_5 Depth=1
	s_mov_b32 s15, 0
.LBB3_1069:                             ;   Parent Loop BB3_5 Depth=1
                                        ; =>  This Inner Loop Header: Depth=2
	s_sleep 1
	s_clause 0x1
	global_load_b64 v[16:17], v1, s[10:11] offset:40
	global_load_b64 v[22:23], v1, s[10:11]
	v_mov_b64_e32 v[18:19], v[6:7]
	s_wait_loadcnt 0x1
	s_delay_alu instid0(VALU_DEP_1) | instskip(SKIP_1) | instid1(VALU_DEP_1)
	v_and_b32_e32 v0, v16, v18
	s_wait_loadcnt 0x0
	v_mad_nc_u64_u32 v[6:7], v0, 24, v[22:23]
	s_delay_alu instid0(VALU_DEP_3) | instskip(NEXT) | instid1(VALU_DEP_1)
	v_and_b32_e32 v0, v17, v19
	v_mad_u32 v7, v0, 24, v7
	global_load_b64 v[16:17], v[6:7], off scope:SCOPE_SYS
	s_wait_xcnt 0x0
	s_wait_loadcnt 0x0
	global_atomic_cmpswap_b64 v[6:7], v1, v[16:19], s[10:11] offset:24 th:TH_ATOMIC_RETURN scope:SCOPE_SYS
	s_wait_loadcnt 0x0
	global_inv scope:SCOPE_SYS
	v_cmp_eq_u64_e32 vcc_lo, v[6:7], v[18:19]
	s_or_b32 s15, vcc_lo, s15
	s_wait_xcnt 0x0
	s_and_not1_b32 exec_lo, exec_lo, s15
	s_cbranch_execnz .LBB3_1069
; %bb.1070:                             ;   in Loop: Header=BB3_5 Depth=1
	s_or_b32 exec_lo, exec_lo, s15
.LBB3_1071:                             ;   in Loop: Header=BB3_5 Depth=1
	s_delay_alu instid0(SALU_CYCLE_1)
	s_or_b32 exec_lo, exec_lo, s14
.LBB3_1072:                             ;   in Loop: Header=BB3_5 Depth=1
	s_delay_alu instid0(SALU_CYCLE_1)
	s_or_b32 exec_lo, exec_lo, s3
	global_load_b64 v[22:23], v1, s[10:11] offset:40
	s_wait_loadcnt 0x1
	global_load_b128 v[16:19], v1, s[10:11]
	v_readfirstlane_b32 s14, v6
	v_readfirstlane_b32 s15, v7
	s_mov_b32 s3, exec_lo
	s_wait_loadcnt 0x1
	v_and_b32_e32 v22, s14, v22
	v_and_b32_e32 v23, s15, v23
	s_delay_alu instid0(VALU_DEP_1) | instskip(SKIP_1) | instid1(VALU_DEP_1)
	v_mul_u64_e32 v[6:7], 24, v[22:23]
	s_wait_loadcnt 0x0
	v_add_nc_u64_e32 v[6:7], v[16:17], v[6:7]
	s_wait_xcnt 0x0
	s_and_saveexec_b32 s16, s2
	s_cbranch_execz .LBB3_1074
; %bb.1073:                             ;   in Loop: Header=BB3_5 Depth=1
	v_mov_b32_e32 v0, s3
	global_store_b128 v[6:7], v[0:3], off offset:8
.LBB3_1074:                             ;   in Loop: Header=BB3_5 Depth=1
	s_wait_xcnt 0x0
	s_or_b32 exec_lo, exec_lo, s16
	v_lshlrev_b64_e32 v[22:23], 12, v[22:23]
	v_mov_b64_e32 v[28:29], s[6:7]
	v_mov_b64_e32 v[26:27], s[4:5]
	v_and_or_b32 v20, 0xffffff1f, v20, 32
	s_delay_alu instid0(VALU_DEP_4) | instskip(SKIP_1) | instid1(VALU_DEP_2)
	v_add_nc_u64_e32 v[24:25], v[18:19], v[22:23]
	v_dual_mov_b32 v22, v1 :: v_dual_mov_b32 v23, v1
	v_readfirstlane_b32 s16, v24
	s_delay_alu instid0(VALU_DEP_3)
	v_readfirstlane_b32 s17, v25
	s_clause 0x3
	global_store_b128 v42, v[20:23], s[16:17]
	global_store_b128 v42, v[26:29], s[16:17] offset:16
	global_store_b128 v42, v[26:29], s[16:17] offset:32
	;; [unrolled: 1-line block ×3, first 2 shown]
	s_wait_xcnt 0x0
	s_and_saveexec_b32 s3, s2
	s_cbranch_execz .LBB3_1082
; %bb.1075:                             ;   in Loop: Header=BB3_5 Depth=1
	s_clause 0x1
	global_load_b64 v[28:29], v1, s[10:11] offset:32 scope:SCOPE_SYS
	global_load_b64 v[18:19], v1, s[10:11] offset:40
	s_mov_b32 s16, exec_lo
	v_dual_mov_b32 v26, s14 :: v_dual_mov_b32 v27, s15
	s_wait_loadcnt 0x0
	v_and_b32_e32 v19, s15, v19
	v_and_b32_e32 v18, s14, v18
	s_delay_alu instid0(VALU_DEP_1) | instskip(NEXT) | instid1(VALU_DEP_1)
	v_mul_u64_e32 v[18:19], 24, v[18:19]
	v_add_nc_u64_e32 v[20:21], v[16:17], v[18:19]
	global_store_b64 v[20:21], v[28:29], off
	global_wb scope:SCOPE_SYS
	s_wait_storecnt 0x0
	s_wait_xcnt 0x0
	global_atomic_cmpswap_b64 v[18:19], v1, v[26:29], s[10:11] offset:32 th:TH_ATOMIC_RETURN scope:SCOPE_SYS
	s_wait_loadcnt 0x0
	v_cmpx_ne_u64_e64 v[18:19], v[28:29]
	s_cbranch_execz .LBB3_1078
; %bb.1076:                             ;   in Loop: Header=BB3_5 Depth=1
	s_mov_b32 s17, 0
.LBB3_1077:                             ;   Parent Loop BB3_5 Depth=1
                                        ; =>  This Inner Loop Header: Depth=2
	v_dual_mov_b32 v16, s14 :: v_dual_mov_b32 v17, s15
	s_sleep 1
	global_store_b64 v[20:21], v[18:19], off
	global_wb scope:SCOPE_SYS
	s_wait_storecnt 0x0
	s_wait_xcnt 0x0
	global_atomic_cmpswap_b64 v[16:17], v1, v[16:19], s[10:11] offset:32 th:TH_ATOMIC_RETURN scope:SCOPE_SYS
	s_wait_loadcnt 0x0
	v_cmp_eq_u64_e32 vcc_lo, v[16:17], v[18:19]
	v_mov_b64_e32 v[18:19], v[16:17]
	s_or_b32 s17, vcc_lo, s17
	s_delay_alu instid0(SALU_CYCLE_1)
	s_and_not1_b32 exec_lo, exec_lo, s17
	s_cbranch_execnz .LBB3_1077
.LBB3_1078:                             ;   in Loop: Header=BB3_5 Depth=1
	s_or_b32 exec_lo, exec_lo, s16
	global_load_b64 v[16:17], v1, s[10:11] offset:16
	s_mov_b32 s17, exec_lo
	s_mov_b32 s16, exec_lo
	v_mbcnt_lo_u32_b32 v0, s17, 0
	s_wait_xcnt 0x0
	s_delay_alu instid0(VALU_DEP_1)
	v_cmpx_eq_u32_e32 0, v0
	s_cbranch_execz .LBB3_1080
; %bb.1079:                             ;   in Loop: Header=BB3_5 Depth=1
	s_bcnt1_i32_b32 s17, s17
	s_delay_alu instid0(SALU_CYCLE_1)
	v_mov_b32_e32 v0, s17
	global_wb scope:SCOPE_SYS
	s_wait_loadcnt 0x0
	s_wait_storecnt 0x0
	global_atomic_add_u64 v[16:17], v[0:1], off offset:8 scope:SCOPE_SYS
.LBB3_1080:                             ;   in Loop: Header=BB3_5 Depth=1
	s_wait_xcnt 0x0
	s_or_b32 exec_lo, exec_lo, s16
	s_wait_loadcnt 0x0
	global_load_b64 v[18:19], v[16:17], off offset:16
	s_wait_loadcnt 0x0
	v_cmp_eq_u64_e32 vcc_lo, 0, v[18:19]
	s_cbranch_vccnz .LBB3_1082
; %bb.1081:                             ;   in Loop: Header=BB3_5 Depth=1
	global_load_b32 v0, v[16:17], off offset:24
	s_wait_loadcnt 0x0
	v_readfirstlane_b32 s16, v0
	global_wb scope:SCOPE_SYS
	s_wait_storecnt 0x0
	s_wait_xcnt 0x0
	global_store_b64 v[18:19], v[0:1], off scope:SCOPE_SYS
	s_and_b32 m0, s16, 0xffffff
	s_sendmsg sendmsg(MSG_INTERRUPT)
.LBB3_1082:                             ;   in Loop: Header=BB3_5 Depth=1
	s_wait_xcnt 0x0
	s_or_b32 exec_lo, exec_lo, s3
	v_mov_b32_e32 v43, v1
	s_delay_alu instid0(VALU_DEP_1)
	v_add_nc_u64_e32 v[16:17], v[24:25], v[42:43]
	s_branch .LBB3_1086
.LBB3_1083:                             ;   in Loop: Header=BB3_1086 Depth=2
	s_wait_xcnt 0x0
	s_or_b32 exec_lo, exec_lo, s3
	s_delay_alu instid0(VALU_DEP_1)
	v_readfirstlane_b32 s3, v0
	s_cmp_eq_u32 s3, 0
	s_cbranch_scc1 .LBB3_1085
; %bb.1084:                             ;   in Loop: Header=BB3_1086 Depth=2
	s_sleep 1
	s_cbranch_execnz .LBB3_1086
	s_branch .LBB3_1088
.LBB3_1085:                             ;   in Loop: Header=BB3_5 Depth=1
	s_branch .LBB3_1088
.LBB3_1086:                             ;   Parent Loop BB3_5 Depth=1
                                        ; =>  This Inner Loop Header: Depth=2
	v_mov_b32_e32 v0, 1
	s_and_saveexec_b32 s3, s2
	s_cbranch_execz .LBB3_1083
; %bb.1087:                             ;   in Loop: Header=BB3_1086 Depth=2
	global_load_b32 v0, v[6:7], off offset:20 scope:SCOPE_SYS
	s_wait_loadcnt 0x0
	global_inv scope:SCOPE_SYS
	v_and_b32_e32 v0, 1, v0
	s_branch .LBB3_1083
.LBB3_1088:                             ;   in Loop: Header=BB3_5 Depth=1
	global_load_b64 v[16:17], v[16:17], off
	s_wait_xcnt 0x0
	s_and_saveexec_b32 s16, s2
	s_cbranch_execz .LBB3_1092
; %bb.1089:                             ;   in Loop: Header=BB3_5 Depth=1
	s_clause 0x2
	global_load_b64 v[6:7], v1, s[10:11] offset:40
	global_load_b64 v[22:23], v1, s[10:11] offset:24 scope:SCOPE_SYS
	global_load_b64 v[18:19], v1, s[10:11]
	s_wait_loadcnt 0x2
	v_readfirstlane_b32 s18, v6
	v_readfirstlane_b32 s19, v7
	s_add_nc_u64 s[2:3], s[18:19], 1
	s_delay_alu instid0(SALU_CYCLE_1) | instskip(NEXT) | instid1(SALU_CYCLE_1)
	s_add_nc_u64 s[14:15], s[2:3], s[14:15]
	s_cmp_eq_u64 s[14:15], 0
	s_cselect_b32 s3, s3, s15
	s_cselect_b32 s2, s2, s14
	s_delay_alu instid0(SALU_CYCLE_1) | instskip(SKIP_1) | instid1(SALU_CYCLE_1)
	v_dual_mov_b32 v21, s3 :: v_dual_mov_b32 v20, s2
	s_and_b64 s[14:15], s[2:3], s[18:19]
	s_mul_u64 s[14:15], s[14:15], 24
	s_wait_loadcnt 0x0
	v_add_nc_u64_e32 v[6:7], s[14:15], v[18:19]
	global_store_b64 v[6:7], v[22:23], off
	global_wb scope:SCOPE_SYS
	s_wait_storecnt 0x0
	s_wait_xcnt 0x0
	global_atomic_cmpswap_b64 v[20:21], v1, v[20:23], s[10:11] offset:24 th:TH_ATOMIC_RETURN scope:SCOPE_SYS
	s_wait_loadcnt 0x0
	v_cmp_ne_u64_e32 vcc_lo, v[20:21], v[22:23]
	s_and_b32 exec_lo, exec_lo, vcc_lo
	s_cbranch_execz .LBB3_1092
; %bb.1090:                             ;   in Loop: Header=BB3_5 Depth=1
	s_mov_b32 s14, 0
.LBB3_1091:                             ;   Parent Loop BB3_5 Depth=1
                                        ; =>  This Inner Loop Header: Depth=2
	v_dual_mov_b32 v18, s2 :: v_dual_mov_b32 v19, s3
	s_sleep 1
	global_store_b64 v[6:7], v[20:21], off
	global_wb scope:SCOPE_SYS
	s_wait_storecnt 0x0
	s_wait_xcnt 0x0
	global_atomic_cmpswap_b64 v[18:19], v1, v[18:21], s[10:11] offset:24 th:TH_ATOMIC_RETURN scope:SCOPE_SYS
	s_wait_loadcnt 0x0
	v_cmp_eq_u64_e32 vcc_lo, v[18:19], v[20:21]
	v_mov_b64_e32 v[20:21], v[18:19]
	s_or_b32 s14, vcc_lo, s14
	s_delay_alu instid0(SALU_CYCLE_1)
	s_and_not1_b32 exec_lo, exec_lo, s14
	s_cbranch_execnz .LBB3_1091
.LBB3_1092:                             ;   in Loop: Header=BB3_5 Depth=1
	s_or_b32 exec_lo, exec_lo, s16
	s_delay_alu instid0(SALU_CYCLE_1)
	s_and_b32 vcc_lo, exec_lo, s26
	s_cbranch_vccnz .LBB3_987
.LBB3_1093:                             ;   in Loop: Header=BB3_5 Depth=1
                                        ; implicit-def: $vgpr18_vgpr19
	s_cbranch_execz .LBB3_1121
; %bb.1094:                             ;   in Loop: Header=BB3_5 Depth=1
	v_readfirstlane_b32 s2, v40
	v_mov_b64_e32 v[6:7], 0
	s_delay_alu instid0(VALU_DEP_2)
	v_cmp_eq_u32_e64 s2, s2, v40
	s_and_saveexec_b32 s3, s2
	s_cbranch_execz .LBB3_1100
; %bb.1095:                             ;   in Loop: Header=BB3_5 Depth=1
	s_wait_loadcnt 0x0
	global_load_b64 v[20:21], v1, s[10:11] offset:24 scope:SCOPE_SYS
	s_wait_loadcnt 0x0
	global_inv scope:SCOPE_SYS
	s_clause 0x1
	global_load_b64 v[6:7], v1, s[10:11] offset:40
	global_load_b64 v[18:19], v1, s[10:11]
	s_mov_b32 s14, exec_lo
	s_wait_loadcnt 0x1
	v_and_b32_e32 v6, v6, v20
	v_and_b32_e32 v7, v7, v21
	s_delay_alu instid0(VALU_DEP_1) | instskip(SKIP_1) | instid1(VALU_DEP_1)
	v_mul_u64_e32 v[6:7], 24, v[6:7]
	s_wait_loadcnt 0x0
	v_add_nc_u64_e32 v[6:7], v[18:19], v[6:7]
	global_load_b64 v[18:19], v[6:7], off scope:SCOPE_SYS
	s_wait_xcnt 0x0
	s_wait_loadcnt 0x0
	global_atomic_cmpswap_b64 v[6:7], v1, v[18:21], s[10:11] offset:24 th:TH_ATOMIC_RETURN scope:SCOPE_SYS
	s_wait_loadcnt 0x0
	global_inv scope:SCOPE_SYS
	s_wait_xcnt 0x0
	v_cmpx_ne_u64_e64 v[6:7], v[20:21]
	s_cbranch_execz .LBB3_1099
; %bb.1096:                             ;   in Loop: Header=BB3_5 Depth=1
	s_mov_b32 s15, 0
.LBB3_1097:                             ;   Parent Loop BB3_5 Depth=1
                                        ; =>  This Inner Loop Header: Depth=2
	s_sleep 1
	s_clause 0x1
	global_load_b64 v[18:19], v1, s[10:11] offset:40
	global_load_b64 v[22:23], v1, s[10:11]
	v_mov_b64_e32 v[20:21], v[6:7]
	s_wait_loadcnt 0x1
	s_delay_alu instid0(VALU_DEP_1) | instskip(SKIP_1) | instid1(VALU_DEP_1)
	v_and_b32_e32 v0, v18, v20
	s_wait_loadcnt 0x0
	v_mad_nc_u64_u32 v[6:7], v0, 24, v[22:23]
	s_delay_alu instid0(VALU_DEP_3) | instskip(NEXT) | instid1(VALU_DEP_1)
	v_and_b32_e32 v0, v19, v21
	v_mad_u32 v7, v0, 24, v7
	global_load_b64 v[18:19], v[6:7], off scope:SCOPE_SYS
	s_wait_xcnt 0x0
	s_wait_loadcnt 0x0
	global_atomic_cmpswap_b64 v[6:7], v1, v[18:21], s[10:11] offset:24 th:TH_ATOMIC_RETURN scope:SCOPE_SYS
	s_wait_loadcnt 0x0
	global_inv scope:SCOPE_SYS
	v_cmp_eq_u64_e32 vcc_lo, v[6:7], v[20:21]
	s_or_b32 s15, vcc_lo, s15
	s_wait_xcnt 0x0
	s_and_not1_b32 exec_lo, exec_lo, s15
	s_cbranch_execnz .LBB3_1097
; %bb.1098:                             ;   in Loop: Header=BB3_5 Depth=1
	s_or_b32 exec_lo, exec_lo, s15
.LBB3_1099:                             ;   in Loop: Header=BB3_5 Depth=1
	s_delay_alu instid0(SALU_CYCLE_1)
	s_or_b32 exec_lo, exec_lo, s14
.LBB3_1100:                             ;   in Loop: Header=BB3_5 Depth=1
	s_delay_alu instid0(SALU_CYCLE_1)
	s_or_b32 exec_lo, exec_lo, s3
	s_wait_loadcnt 0x0
	s_clause 0x1
	global_load_b64 v[18:19], v1, s[10:11] offset:40
	global_load_b128 v[20:23], v1, s[10:11]
	v_readfirstlane_b32 s14, v6
	v_readfirstlane_b32 s15, v7
	s_mov_b32 s3, exec_lo
	s_wait_loadcnt 0x1
	v_and_b32_e32 v18, s14, v18
	v_and_b32_e32 v19, s15, v19
	s_delay_alu instid0(VALU_DEP_1) | instskip(SKIP_1) | instid1(VALU_DEP_1)
	v_mul_u64_e32 v[6:7], 24, v[18:19]
	s_wait_loadcnt 0x0
	v_add_nc_u64_e32 v[6:7], v[20:21], v[6:7]
	s_wait_xcnt 0x0
	s_and_saveexec_b32 s16, s2
	s_cbranch_execz .LBB3_1102
; %bb.1101:                             ;   in Loop: Header=BB3_5 Depth=1
	v_mov_b32_e32 v0, s3
	global_store_b128 v[6:7], v[0:3], off offset:8
.LBB3_1102:                             ;   in Loop: Header=BB3_5 Depth=1
	s_wait_xcnt 0x0
	s_or_b32 exec_lo, exec_lo, s16
	v_lshlrev_b64_e32 v[18:19], 12, v[18:19]
	v_mov_b64_e32 v[26:27], s[6:7]
	v_mov_b64_e32 v[24:25], s[4:5]
	v_and_or_b32 v16, 0xffffff1f, v16, 32
	s_delay_alu instid0(VALU_DEP_4) | instskip(SKIP_1) | instid1(VALU_DEP_2)
	v_add_nc_u64_e32 v[22:23], v[22:23], v[18:19]
	v_dual_mov_b32 v18, v1 :: v_dual_mov_b32 v19, v1
	v_readfirstlane_b32 s16, v22
	s_delay_alu instid0(VALU_DEP_3)
	v_readfirstlane_b32 s17, v23
	s_clause 0x3
	global_store_b128 v42, v[16:19], s[16:17]
	global_store_b128 v42, v[24:27], s[16:17] offset:16
	global_store_b128 v42, v[24:27], s[16:17] offset:32
	;; [unrolled: 1-line block ×3, first 2 shown]
	s_wait_xcnt 0x0
	s_and_saveexec_b32 s3, s2
	s_cbranch_execz .LBB3_1110
; %bb.1103:                             ;   in Loop: Header=BB3_5 Depth=1
	s_clause 0x1
	global_load_b64 v[26:27], v1, s[10:11] offset:32 scope:SCOPE_SYS
	global_load_b64 v[16:17], v1, s[10:11] offset:40
	s_mov_b32 s16, exec_lo
	v_dual_mov_b32 v24, s14 :: v_dual_mov_b32 v25, s15
	s_wait_loadcnt 0x0
	v_and_b32_e32 v17, s15, v17
	v_and_b32_e32 v16, s14, v16
	s_delay_alu instid0(VALU_DEP_1) | instskip(NEXT) | instid1(VALU_DEP_1)
	v_mul_u64_e32 v[16:17], 24, v[16:17]
	v_add_nc_u64_e32 v[20:21], v[20:21], v[16:17]
	global_store_b64 v[20:21], v[26:27], off
	global_wb scope:SCOPE_SYS
	s_wait_storecnt 0x0
	s_wait_xcnt 0x0
	global_atomic_cmpswap_b64 v[18:19], v1, v[24:27], s[10:11] offset:32 th:TH_ATOMIC_RETURN scope:SCOPE_SYS
	s_wait_loadcnt 0x0
	v_cmpx_ne_u64_e64 v[18:19], v[26:27]
	s_cbranch_execz .LBB3_1106
; %bb.1104:                             ;   in Loop: Header=BB3_5 Depth=1
	s_mov_b32 s17, 0
.LBB3_1105:                             ;   Parent Loop BB3_5 Depth=1
                                        ; =>  This Inner Loop Header: Depth=2
	v_dual_mov_b32 v16, s14 :: v_dual_mov_b32 v17, s15
	s_sleep 1
	global_store_b64 v[20:21], v[18:19], off
	global_wb scope:SCOPE_SYS
	s_wait_storecnt 0x0
	s_wait_xcnt 0x0
	global_atomic_cmpswap_b64 v[16:17], v1, v[16:19], s[10:11] offset:32 th:TH_ATOMIC_RETURN scope:SCOPE_SYS
	s_wait_loadcnt 0x0
	v_cmp_eq_u64_e32 vcc_lo, v[16:17], v[18:19]
	v_mov_b64_e32 v[18:19], v[16:17]
	s_or_b32 s17, vcc_lo, s17
	s_delay_alu instid0(SALU_CYCLE_1)
	s_and_not1_b32 exec_lo, exec_lo, s17
	s_cbranch_execnz .LBB3_1105
.LBB3_1106:                             ;   in Loop: Header=BB3_5 Depth=1
	s_or_b32 exec_lo, exec_lo, s16
	global_load_b64 v[16:17], v1, s[10:11] offset:16
	s_mov_b32 s17, exec_lo
	s_mov_b32 s16, exec_lo
	v_mbcnt_lo_u32_b32 v0, s17, 0
	s_wait_xcnt 0x0
	s_delay_alu instid0(VALU_DEP_1)
	v_cmpx_eq_u32_e32 0, v0
	s_cbranch_execz .LBB3_1108
; %bb.1107:                             ;   in Loop: Header=BB3_5 Depth=1
	s_bcnt1_i32_b32 s17, s17
	s_delay_alu instid0(SALU_CYCLE_1)
	v_mov_b32_e32 v0, s17
	global_wb scope:SCOPE_SYS
	s_wait_loadcnt 0x0
	s_wait_storecnt 0x0
	global_atomic_add_u64 v[16:17], v[0:1], off offset:8 scope:SCOPE_SYS
.LBB3_1108:                             ;   in Loop: Header=BB3_5 Depth=1
	s_wait_xcnt 0x0
	s_or_b32 exec_lo, exec_lo, s16
	s_wait_loadcnt 0x0
	global_load_b64 v[18:19], v[16:17], off offset:16
	s_wait_loadcnt 0x0
	v_cmp_eq_u64_e32 vcc_lo, 0, v[18:19]
	s_cbranch_vccnz .LBB3_1110
; %bb.1109:                             ;   in Loop: Header=BB3_5 Depth=1
	global_load_b32 v0, v[16:17], off offset:24
	s_wait_loadcnt 0x0
	v_readfirstlane_b32 s16, v0
	global_wb scope:SCOPE_SYS
	s_wait_storecnt 0x0
	s_wait_xcnt 0x0
	global_store_b64 v[18:19], v[0:1], off scope:SCOPE_SYS
	s_and_b32 m0, s16, 0xffffff
	s_sendmsg sendmsg(MSG_INTERRUPT)
.LBB3_1110:                             ;   in Loop: Header=BB3_5 Depth=1
	s_wait_xcnt 0x0
	s_or_b32 exec_lo, exec_lo, s3
	v_mov_b32_e32 v43, v1
	s_delay_alu instid0(VALU_DEP_1)
	v_add_nc_u64_e32 v[16:17], v[22:23], v[42:43]
	s_branch .LBB3_1114
.LBB3_1111:                             ;   in Loop: Header=BB3_1114 Depth=2
	s_wait_xcnt 0x0
	s_or_b32 exec_lo, exec_lo, s3
	s_delay_alu instid0(VALU_DEP_1)
	v_readfirstlane_b32 s3, v0
	s_cmp_eq_u32 s3, 0
	s_cbranch_scc1 .LBB3_1113
; %bb.1112:                             ;   in Loop: Header=BB3_1114 Depth=2
	s_sleep 1
	s_cbranch_execnz .LBB3_1114
	s_branch .LBB3_1116
.LBB3_1113:                             ;   in Loop: Header=BB3_5 Depth=1
	s_branch .LBB3_1116
.LBB3_1114:                             ;   Parent Loop BB3_5 Depth=1
                                        ; =>  This Inner Loop Header: Depth=2
	v_mov_b32_e32 v0, 1
	s_and_saveexec_b32 s3, s2
	s_cbranch_execz .LBB3_1111
; %bb.1115:                             ;   in Loop: Header=BB3_1114 Depth=2
	global_load_b32 v0, v[6:7], off offset:20 scope:SCOPE_SYS
	s_wait_loadcnt 0x0
	global_inv scope:SCOPE_SYS
	v_and_b32_e32 v0, 1, v0
	s_branch .LBB3_1111
.LBB3_1116:                             ;   in Loop: Header=BB3_5 Depth=1
	global_load_b64 v[18:19], v[16:17], off
	s_wait_xcnt 0x0
	s_and_saveexec_b32 s16, s2
	s_cbranch_execz .LBB3_1120
; %bb.1117:                             ;   in Loop: Header=BB3_5 Depth=1
	s_clause 0x2
	global_load_b64 v[6:7], v1, s[10:11] offset:40
	global_load_b64 v[24:25], v1, s[10:11] offset:24 scope:SCOPE_SYS
	global_load_b64 v[16:17], v1, s[10:11]
	s_wait_loadcnt 0x2
	v_readfirstlane_b32 s18, v6
	v_readfirstlane_b32 s19, v7
	s_add_nc_u64 s[2:3], s[18:19], 1
	s_delay_alu instid0(SALU_CYCLE_1) | instskip(NEXT) | instid1(SALU_CYCLE_1)
	s_add_nc_u64 s[14:15], s[2:3], s[14:15]
	s_cmp_eq_u64 s[14:15], 0
	s_cselect_b32 s3, s3, s15
	s_cselect_b32 s2, s2, s14
	s_delay_alu instid0(SALU_CYCLE_1) | instskip(SKIP_1) | instid1(SALU_CYCLE_1)
	v_dual_mov_b32 v23, s3 :: v_dual_mov_b32 v22, s2
	s_and_b64 s[14:15], s[2:3], s[18:19]
	s_mul_u64 s[14:15], s[14:15], 24
	s_wait_loadcnt 0x0
	v_add_nc_u64_e32 v[6:7], s[14:15], v[16:17]
	global_store_b64 v[6:7], v[24:25], off
	global_wb scope:SCOPE_SYS
	s_wait_storecnt 0x0
	s_wait_xcnt 0x0
	global_atomic_cmpswap_b64 v[22:23], v1, v[22:25], s[10:11] offset:24 th:TH_ATOMIC_RETURN scope:SCOPE_SYS
	s_wait_loadcnt 0x0
	v_cmp_ne_u64_e32 vcc_lo, v[22:23], v[24:25]
	s_and_b32 exec_lo, exec_lo, vcc_lo
	s_cbranch_execz .LBB3_1120
; %bb.1118:                             ;   in Loop: Header=BB3_5 Depth=1
	s_mov_b32 s14, 0
.LBB3_1119:                             ;   Parent Loop BB3_5 Depth=1
                                        ; =>  This Inner Loop Header: Depth=2
	v_dual_mov_b32 v20, s2 :: v_dual_mov_b32 v21, s3
	s_sleep 1
	global_store_b64 v[6:7], v[22:23], off
	global_wb scope:SCOPE_SYS
	s_wait_storecnt 0x0
	s_wait_xcnt 0x0
	global_atomic_cmpswap_b64 v[16:17], v1, v[20:23], s[10:11] offset:24 th:TH_ATOMIC_RETURN scope:SCOPE_SYS
	s_wait_loadcnt 0x0
	v_cmp_eq_u64_e32 vcc_lo, v[16:17], v[22:23]
	v_mov_b64_e32 v[22:23], v[16:17]
	s_or_b32 s14, vcc_lo, s14
	s_delay_alu instid0(SALU_CYCLE_1)
	s_and_not1_b32 exec_lo, exec_lo, s14
	s_cbranch_execnz .LBB3_1119
.LBB3_1120:                             ;   in Loop: Header=BB3_5 Depth=1
	s_or_b32 exec_lo, exec_lo, s16
.LBB3_1121:                             ;   in Loop: Header=BB3_5 Depth=1
	v_readfirstlane_b32 s2, v40
	v_mov_b64_e32 v[6:7], 0
	s_delay_alu instid0(VALU_DEP_2)
	v_cmp_eq_u32_e64 s2, s2, v40
	s_and_saveexec_b32 s3, s2
	s_cbranch_execz .LBB3_1127
; %bb.1122:                             ;   in Loop: Header=BB3_5 Depth=1
	global_load_b64 v[22:23], v1, s[10:11] offset:24 scope:SCOPE_SYS
	s_wait_loadcnt 0x0
	global_inv scope:SCOPE_SYS
	s_clause 0x1
	global_load_b64 v[6:7], v1, s[10:11] offset:40
	global_load_b64 v[16:17], v1, s[10:11]
	s_mov_b32 s14, exec_lo
	s_wait_loadcnt 0x1
	v_and_b32_e32 v6, v6, v22
	v_and_b32_e32 v7, v7, v23
	s_delay_alu instid0(VALU_DEP_1) | instskip(SKIP_1) | instid1(VALU_DEP_1)
	v_mul_u64_e32 v[6:7], 24, v[6:7]
	s_wait_loadcnt 0x0
	v_add_nc_u64_e32 v[6:7], v[16:17], v[6:7]
	global_load_b64 v[20:21], v[6:7], off scope:SCOPE_SYS
	s_wait_xcnt 0x0
	s_wait_loadcnt 0x0
	global_atomic_cmpswap_b64 v[6:7], v1, v[20:23], s[10:11] offset:24 th:TH_ATOMIC_RETURN scope:SCOPE_SYS
	s_wait_loadcnt 0x0
	global_inv scope:SCOPE_SYS
	s_wait_xcnt 0x0
	v_cmpx_ne_u64_e64 v[6:7], v[22:23]
	s_cbranch_execz .LBB3_1126
; %bb.1123:                             ;   in Loop: Header=BB3_5 Depth=1
	s_mov_b32 s15, 0
.LBB3_1124:                             ;   Parent Loop BB3_5 Depth=1
                                        ; =>  This Inner Loop Header: Depth=2
	s_sleep 1
	s_clause 0x1
	global_load_b64 v[16:17], v1, s[10:11] offset:40
	global_load_b64 v[20:21], v1, s[10:11]
	v_mov_b64_e32 v[22:23], v[6:7]
	s_wait_loadcnt 0x1
	s_delay_alu instid0(VALU_DEP_1) | instskip(SKIP_1) | instid1(VALU_DEP_1)
	v_and_b32_e32 v0, v16, v22
	s_wait_loadcnt 0x0
	v_mad_nc_u64_u32 v[6:7], v0, 24, v[20:21]
	s_delay_alu instid0(VALU_DEP_3) | instskip(NEXT) | instid1(VALU_DEP_1)
	v_and_b32_e32 v0, v17, v23
	v_mad_u32 v7, v0, 24, v7
	global_load_b64 v[20:21], v[6:7], off scope:SCOPE_SYS
	s_wait_xcnt 0x0
	s_wait_loadcnt 0x0
	global_atomic_cmpswap_b64 v[6:7], v1, v[20:23], s[10:11] offset:24 th:TH_ATOMIC_RETURN scope:SCOPE_SYS
	s_wait_loadcnt 0x0
	global_inv scope:SCOPE_SYS
	v_cmp_eq_u64_e32 vcc_lo, v[6:7], v[22:23]
	s_or_b32 s15, vcc_lo, s15
	s_wait_xcnt 0x0
	s_and_not1_b32 exec_lo, exec_lo, s15
	s_cbranch_execnz .LBB3_1124
; %bb.1125:                             ;   in Loop: Header=BB3_5 Depth=1
	s_or_b32 exec_lo, exec_lo, s15
.LBB3_1126:                             ;   in Loop: Header=BB3_5 Depth=1
	s_delay_alu instid0(SALU_CYCLE_1)
	s_or_b32 exec_lo, exec_lo, s14
.LBB3_1127:                             ;   in Loop: Header=BB3_5 Depth=1
	s_delay_alu instid0(SALU_CYCLE_1)
	s_or_b32 exec_lo, exec_lo, s3
	s_wait_loadcnt 0x0
	s_clause 0x1
	global_load_b64 v[16:17], v1, s[10:11] offset:40
	global_load_b128 v[22:25], v1, s[10:11]
	v_readfirstlane_b32 s14, v6
	v_readfirstlane_b32 s15, v7
	s_mov_b32 s3, exec_lo
	s_wait_loadcnt 0x1
	v_and_b32_e32 v16, s14, v16
	v_and_b32_e32 v17, s15, v17
	s_delay_alu instid0(VALU_DEP_1) | instskip(SKIP_1) | instid1(VALU_DEP_1)
	v_mul_u64_e32 v[6:7], 24, v[16:17]
	s_wait_loadcnt 0x0
	v_add_nc_u64_e32 v[6:7], v[22:23], v[6:7]
	s_wait_xcnt 0x0
	s_and_saveexec_b32 s16, s2
	s_cbranch_execz .LBB3_1129
; %bb.1128:                             ;   in Loop: Header=BB3_5 Depth=1
	v_mov_b32_e32 v0, s3
	global_store_b128 v[6:7], v[0:3], off offset:8
.LBB3_1129:                             ;   in Loop: Header=BB3_5 Depth=1
	s_wait_xcnt 0x0
	s_or_b32 exec_lo, exec_lo, s16
	v_lshlrev_b64_e32 v[16:17], 12, v[16:17]
	v_mov_b64_e32 v[28:29], s[6:7]
	v_mov_b64_e32 v[26:27], s[4:5]
	v_and_or_b32 v18, 0xffffff1f, v18, 32
	v_dual_mov_b32 v20, v38 :: v_dual_mov_b32 v21, v39
	v_add_nc_u64_e32 v[24:25], v[24:25], v[16:17]
	s_delay_alu instid0(VALU_DEP_1) | instskip(NEXT) | instid1(VALU_DEP_2)
	v_readfirstlane_b32 s16, v24
	v_readfirstlane_b32 s17, v25
	s_clause 0x3
	global_store_b128 v42, v[18:21], s[16:17]
	global_store_b128 v42, v[26:29], s[16:17] offset:16
	global_store_b128 v42, v[26:29], s[16:17] offset:32
	;; [unrolled: 1-line block ×3, first 2 shown]
	s_wait_xcnt 0x0
	s_and_saveexec_b32 s3, s2
	s_cbranch_execz .LBB3_1137
; %bb.1130:                             ;   in Loop: Header=BB3_5 Depth=1
	s_clause 0x1
	global_load_b64 v[28:29], v1, s[10:11] offset:32 scope:SCOPE_SYS
	global_load_b64 v[16:17], v1, s[10:11] offset:40
	s_mov_b32 s16, exec_lo
	v_dual_mov_b32 v26, s14 :: v_dual_mov_b32 v27, s15
	s_wait_loadcnt 0x0
	v_and_b32_e32 v17, s15, v17
	v_and_b32_e32 v16, s14, v16
	s_delay_alu instid0(VALU_DEP_1) | instskip(NEXT) | instid1(VALU_DEP_1)
	v_mul_u64_e32 v[16:17], 24, v[16:17]
	v_add_nc_u64_e32 v[20:21], v[22:23], v[16:17]
	global_store_b64 v[20:21], v[28:29], off
	global_wb scope:SCOPE_SYS
	s_wait_storecnt 0x0
	s_wait_xcnt 0x0
	global_atomic_cmpswap_b64 v[18:19], v1, v[26:29], s[10:11] offset:32 th:TH_ATOMIC_RETURN scope:SCOPE_SYS
	s_wait_loadcnt 0x0
	v_cmpx_ne_u64_e64 v[18:19], v[28:29]
	s_cbranch_execz .LBB3_1133
; %bb.1131:                             ;   in Loop: Header=BB3_5 Depth=1
	s_mov_b32 s17, 0
.LBB3_1132:                             ;   Parent Loop BB3_5 Depth=1
                                        ; =>  This Inner Loop Header: Depth=2
	v_dual_mov_b32 v16, s14 :: v_dual_mov_b32 v17, s15
	s_sleep 1
	global_store_b64 v[20:21], v[18:19], off
	global_wb scope:SCOPE_SYS
	s_wait_storecnt 0x0
	s_wait_xcnt 0x0
	global_atomic_cmpswap_b64 v[16:17], v1, v[16:19], s[10:11] offset:32 th:TH_ATOMIC_RETURN scope:SCOPE_SYS
	s_wait_loadcnt 0x0
	v_cmp_eq_u64_e32 vcc_lo, v[16:17], v[18:19]
	v_mov_b64_e32 v[18:19], v[16:17]
	s_or_b32 s17, vcc_lo, s17
	s_delay_alu instid0(SALU_CYCLE_1)
	s_and_not1_b32 exec_lo, exec_lo, s17
	s_cbranch_execnz .LBB3_1132
.LBB3_1133:                             ;   in Loop: Header=BB3_5 Depth=1
	s_or_b32 exec_lo, exec_lo, s16
	global_load_b64 v[16:17], v1, s[10:11] offset:16
	s_mov_b32 s17, exec_lo
	s_mov_b32 s16, exec_lo
	v_mbcnt_lo_u32_b32 v0, s17, 0
	s_wait_xcnt 0x0
	s_delay_alu instid0(VALU_DEP_1)
	v_cmpx_eq_u32_e32 0, v0
	s_cbranch_execz .LBB3_1135
; %bb.1134:                             ;   in Loop: Header=BB3_5 Depth=1
	s_bcnt1_i32_b32 s17, s17
	s_delay_alu instid0(SALU_CYCLE_1)
	v_mov_b32_e32 v0, s17
	global_wb scope:SCOPE_SYS
	s_wait_loadcnt 0x0
	s_wait_storecnt 0x0
	global_atomic_add_u64 v[16:17], v[0:1], off offset:8 scope:SCOPE_SYS
.LBB3_1135:                             ;   in Loop: Header=BB3_5 Depth=1
	s_wait_xcnt 0x0
	s_or_b32 exec_lo, exec_lo, s16
	s_wait_loadcnt 0x0
	global_load_b64 v[18:19], v[16:17], off offset:16
	s_wait_loadcnt 0x0
	v_cmp_eq_u64_e32 vcc_lo, 0, v[18:19]
	s_cbranch_vccnz .LBB3_1137
; %bb.1136:                             ;   in Loop: Header=BB3_5 Depth=1
	global_load_b32 v0, v[16:17], off offset:24
	s_wait_loadcnt 0x0
	v_readfirstlane_b32 s16, v0
	global_wb scope:SCOPE_SYS
	s_wait_storecnt 0x0
	s_wait_xcnt 0x0
	global_store_b64 v[18:19], v[0:1], off scope:SCOPE_SYS
	s_and_b32 m0, s16, 0xffffff
	s_sendmsg sendmsg(MSG_INTERRUPT)
.LBB3_1137:                             ;   in Loop: Header=BB3_5 Depth=1
	s_wait_xcnt 0x0
	s_or_b32 exec_lo, exec_lo, s3
	v_mov_b32_e32 v43, v1
	s_delay_alu instid0(VALU_DEP_1)
	v_add_nc_u64_e32 v[16:17], v[24:25], v[42:43]
	s_branch .LBB3_1141
.LBB3_1138:                             ;   in Loop: Header=BB3_1141 Depth=2
	s_wait_xcnt 0x0
	s_or_b32 exec_lo, exec_lo, s3
	s_delay_alu instid0(VALU_DEP_1)
	v_readfirstlane_b32 s3, v0
	s_cmp_eq_u32 s3, 0
	s_cbranch_scc1 .LBB3_1140
; %bb.1139:                             ;   in Loop: Header=BB3_1141 Depth=2
	s_sleep 1
	s_cbranch_execnz .LBB3_1141
	s_branch .LBB3_1143
.LBB3_1140:                             ;   in Loop: Header=BB3_5 Depth=1
	s_branch .LBB3_1143
.LBB3_1141:                             ;   Parent Loop BB3_5 Depth=1
                                        ; =>  This Inner Loop Header: Depth=2
	v_mov_b32_e32 v0, 1
	s_and_saveexec_b32 s3, s2
	s_cbranch_execz .LBB3_1138
; %bb.1142:                             ;   in Loop: Header=BB3_1141 Depth=2
	global_load_b32 v0, v[6:7], off offset:20 scope:SCOPE_SYS
	s_wait_loadcnt 0x0
	global_inv scope:SCOPE_SYS
	v_and_b32_e32 v0, 1, v0
	s_branch .LBB3_1138
.LBB3_1143:                             ;   in Loop: Header=BB3_5 Depth=1
	global_load_b64 v[16:17], v[16:17], off
	s_wait_xcnt 0x0
	s_and_saveexec_b32 s16, s2
	s_cbranch_execz .LBB3_1147
; %bb.1144:                             ;   in Loop: Header=BB3_5 Depth=1
	s_clause 0x2
	global_load_b64 v[6:7], v1, s[10:11] offset:40
	global_load_b64 v[22:23], v1, s[10:11] offset:24 scope:SCOPE_SYS
	global_load_b64 v[18:19], v1, s[10:11]
	s_wait_loadcnt 0x2
	v_readfirstlane_b32 s18, v6
	v_readfirstlane_b32 s19, v7
	s_add_nc_u64 s[2:3], s[18:19], 1
	s_delay_alu instid0(SALU_CYCLE_1) | instskip(NEXT) | instid1(SALU_CYCLE_1)
	s_add_nc_u64 s[14:15], s[2:3], s[14:15]
	s_cmp_eq_u64 s[14:15], 0
	s_cselect_b32 s3, s3, s15
	s_cselect_b32 s2, s2, s14
	s_delay_alu instid0(SALU_CYCLE_1) | instskip(SKIP_1) | instid1(SALU_CYCLE_1)
	v_dual_mov_b32 v21, s3 :: v_dual_mov_b32 v20, s2
	s_and_b64 s[14:15], s[2:3], s[18:19]
	s_mul_u64 s[14:15], s[14:15], 24
	s_wait_loadcnt 0x0
	v_add_nc_u64_e32 v[6:7], s[14:15], v[18:19]
	global_store_b64 v[6:7], v[22:23], off
	global_wb scope:SCOPE_SYS
	s_wait_storecnt 0x0
	s_wait_xcnt 0x0
	global_atomic_cmpswap_b64 v[20:21], v1, v[20:23], s[10:11] offset:24 th:TH_ATOMIC_RETURN scope:SCOPE_SYS
	s_wait_loadcnt 0x0
	v_cmp_ne_u64_e32 vcc_lo, v[20:21], v[22:23]
	s_and_b32 exec_lo, exec_lo, vcc_lo
	s_cbranch_execz .LBB3_1147
; %bb.1145:                             ;   in Loop: Header=BB3_5 Depth=1
	s_mov_b32 s14, 0
.LBB3_1146:                             ;   Parent Loop BB3_5 Depth=1
                                        ; =>  This Inner Loop Header: Depth=2
	v_dual_mov_b32 v18, s2 :: v_dual_mov_b32 v19, s3
	s_sleep 1
	global_store_b64 v[6:7], v[20:21], off
	global_wb scope:SCOPE_SYS
	s_wait_storecnt 0x0
	s_wait_xcnt 0x0
	global_atomic_cmpswap_b64 v[18:19], v1, v[18:21], s[10:11] offset:24 th:TH_ATOMIC_RETURN scope:SCOPE_SYS
	s_wait_loadcnt 0x0
	v_cmp_eq_u64_e32 vcc_lo, v[18:19], v[20:21]
	v_mov_b64_e32 v[20:21], v[18:19]
	s_or_b32 s14, vcc_lo, s14
	s_delay_alu instid0(SALU_CYCLE_1)
	s_and_not1_b32 exec_lo, exec_lo, s14
	s_cbranch_execnz .LBB3_1146
.LBB3_1147:                             ;   in Loop: Header=BB3_5 Depth=1
	s_or_b32 exec_lo, exec_lo, s16
	v_readfirstlane_b32 s2, v40
	v_mov_b64_e32 v[6:7], 0
	s_delay_alu instid0(VALU_DEP_2)
	v_cmp_eq_u32_e64 s2, s2, v40
	s_and_saveexec_b32 s3, s2
	s_cbranch_execz .LBB3_1153
; %bb.1148:                             ;   in Loop: Header=BB3_5 Depth=1
	global_load_b64 v[20:21], v1, s[10:11] offset:24 scope:SCOPE_SYS
	s_wait_loadcnt 0x0
	global_inv scope:SCOPE_SYS
	s_clause 0x1
	global_load_b64 v[6:7], v1, s[10:11] offset:40
	global_load_b64 v[18:19], v1, s[10:11]
	s_mov_b32 s14, exec_lo
	s_wait_loadcnt 0x1
	v_and_b32_e32 v6, v6, v20
	v_and_b32_e32 v7, v7, v21
	s_delay_alu instid0(VALU_DEP_1) | instskip(SKIP_1) | instid1(VALU_DEP_1)
	v_mul_u64_e32 v[6:7], 24, v[6:7]
	s_wait_loadcnt 0x0
	v_add_nc_u64_e32 v[6:7], v[18:19], v[6:7]
	global_load_b64 v[18:19], v[6:7], off scope:SCOPE_SYS
	s_wait_xcnt 0x0
	s_wait_loadcnt 0x0
	global_atomic_cmpswap_b64 v[6:7], v1, v[18:21], s[10:11] offset:24 th:TH_ATOMIC_RETURN scope:SCOPE_SYS
	s_wait_loadcnt 0x0
	global_inv scope:SCOPE_SYS
	s_wait_xcnt 0x0
	v_cmpx_ne_u64_e64 v[6:7], v[20:21]
	s_cbranch_execz .LBB3_1152
; %bb.1149:                             ;   in Loop: Header=BB3_5 Depth=1
	s_mov_b32 s15, 0
.LBB3_1150:                             ;   Parent Loop BB3_5 Depth=1
                                        ; =>  This Inner Loop Header: Depth=2
	s_sleep 1
	s_clause 0x1
	global_load_b64 v[18:19], v1, s[10:11] offset:40
	global_load_b64 v[22:23], v1, s[10:11]
	v_mov_b64_e32 v[20:21], v[6:7]
	s_wait_loadcnt 0x1
	s_delay_alu instid0(VALU_DEP_1) | instskip(SKIP_1) | instid1(VALU_DEP_1)
	v_and_b32_e32 v0, v18, v20
	s_wait_loadcnt 0x0
	v_mad_nc_u64_u32 v[6:7], v0, 24, v[22:23]
	s_delay_alu instid0(VALU_DEP_3) | instskip(NEXT) | instid1(VALU_DEP_1)
	v_and_b32_e32 v0, v19, v21
	v_mad_u32 v7, v0, 24, v7
	global_load_b64 v[18:19], v[6:7], off scope:SCOPE_SYS
	s_wait_xcnt 0x0
	s_wait_loadcnt 0x0
	global_atomic_cmpswap_b64 v[6:7], v1, v[18:21], s[10:11] offset:24 th:TH_ATOMIC_RETURN scope:SCOPE_SYS
	s_wait_loadcnt 0x0
	global_inv scope:SCOPE_SYS
	v_cmp_eq_u64_e32 vcc_lo, v[6:7], v[20:21]
	s_or_b32 s15, vcc_lo, s15
	s_wait_xcnt 0x0
	s_and_not1_b32 exec_lo, exec_lo, s15
	s_cbranch_execnz .LBB3_1150
; %bb.1151:                             ;   in Loop: Header=BB3_5 Depth=1
	s_or_b32 exec_lo, exec_lo, s15
.LBB3_1152:                             ;   in Loop: Header=BB3_5 Depth=1
	s_delay_alu instid0(SALU_CYCLE_1)
	s_or_b32 exec_lo, exec_lo, s14
.LBB3_1153:                             ;   in Loop: Header=BB3_5 Depth=1
	s_delay_alu instid0(SALU_CYCLE_1)
	s_or_b32 exec_lo, exec_lo, s3
	s_clause 0x1
	global_load_b64 v[18:19], v1, s[10:11] offset:40
	global_load_b128 v[20:23], v1, s[10:11]
	v_readfirstlane_b32 s14, v6
	v_readfirstlane_b32 s15, v7
	s_mov_b32 s3, exec_lo
	s_wait_loadcnt 0x1
	v_and_b32_e32 v18, s14, v18
	v_and_b32_e32 v19, s15, v19
	s_delay_alu instid0(VALU_DEP_1) | instskip(SKIP_1) | instid1(VALU_DEP_1)
	v_mul_u64_e32 v[6:7], 24, v[18:19]
	s_wait_loadcnt 0x0
	v_add_nc_u64_e32 v[6:7], v[20:21], v[6:7]
	s_wait_xcnt 0x0
	s_and_saveexec_b32 s16, s2
	s_cbranch_execz .LBB3_1155
; %bb.1154:                             ;   in Loop: Header=BB3_5 Depth=1
	v_mov_b32_e32 v0, s3
	global_store_b128 v[6:7], v[0:3], off offset:8
.LBB3_1155:                             ;   in Loop: Header=BB3_5 Depth=1
	s_wait_xcnt 0x0
	s_or_b32 exec_lo, exec_lo, s16
	v_lshlrev_b64_e32 v[18:19], 12, v[18:19]
	s_mul_i32 s3, s27, 0x3e8
	v_mov_b64_e32 v[26:27], s[6:7]
	v_mov_b64_e32 v[24:25], s[4:5]
	v_and_or_b32 v16, 0xffffff1d, v16, 34
	s_delay_alu instid0(VALU_DEP_4) | instskip(SKIP_1) | instid1(VALU_DEP_2)
	v_add_nc_u64_e32 v[22:23], v[22:23], v[18:19]
	v_dual_mov_b32 v19, v1 :: v_dual_mov_b32 v18, s3
	v_readfirstlane_b32 s16, v22
	s_delay_alu instid0(VALU_DEP_3)
	v_readfirstlane_b32 s17, v23
	s_clause 0x3
	global_store_b128 v42, v[16:19], s[16:17]
	global_store_b128 v42, v[24:27], s[16:17] offset:16
	global_store_b128 v42, v[24:27], s[16:17] offset:32
	;; [unrolled: 1-line block ×3, first 2 shown]
	s_wait_xcnt 0x0
	s_and_saveexec_b32 s3, s2
	s_cbranch_execz .LBB3_1163
; %bb.1156:                             ;   in Loop: Header=BB3_5 Depth=1
	s_clause 0x1
	global_load_b64 v[26:27], v1, s[10:11] offset:32 scope:SCOPE_SYS
	global_load_b64 v[16:17], v1, s[10:11] offset:40
	s_mov_b32 s16, exec_lo
	v_dual_mov_b32 v24, s14 :: v_dual_mov_b32 v25, s15
	s_wait_loadcnt 0x0
	v_and_b32_e32 v17, s15, v17
	v_and_b32_e32 v16, s14, v16
	s_delay_alu instid0(VALU_DEP_1) | instskip(NEXT) | instid1(VALU_DEP_1)
	v_mul_u64_e32 v[16:17], 24, v[16:17]
	v_add_nc_u64_e32 v[20:21], v[20:21], v[16:17]
	global_store_b64 v[20:21], v[26:27], off
	global_wb scope:SCOPE_SYS
	s_wait_storecnt 0x0
	s_wait_xcnt 0x0
	global_atomic_cmpswap_b64 v[18:19], v1, v[24:27], s[10:11] offset:32 th:TH_ATOMIC_RETURN scope:SCOPE_SYS
	s_wait_loadcnt 0x0
	v_cmpx_ne_u64_e64 v[18:19], v[26:27]
	s_cbranch_execz .LBB3_1159
; %bb.1157:                             ;   in Loop: Header=BB3_5 Depth=1
	s_mov_b32 s17, 0
.LBB3_1158:                             ;   Parent Loop BB3_5 Depth=1
                                        ; =>  This Inner Loop Header: Depth=2
	v_dual_mov_b32 v16, s14 :: v_dual_mov_b32 v17, s15
	s_sleep 1
	global_store_b64 v[20:21], v[18:19], off
	global_wb scope:SCOPE_SYS
	s_wait_storecnt 0x0
	s_wait_xcnt 0x0
	global_atomic_cmpswap_b64 v[16:17], v1, v[16:19], s[10:11] offset:32 th:TH_ATOMIC_RETURN scope:SCOPE_SYS
	s_wait_loadcnt 0x0
	v_cmp_eq_u64_e32 vcc_lo, v[16:17], v[18:19]
	v_mov_b64_e32 v[18:19], v[16:17]
	s_or_b32 s17, vcc_lo, s17
	s_delay_alu instid0(SALU_CYCLE_1)
	s_and_not1_b32 exec_lo, exec_lo, s17
	s_cbranch_execnz .LBB3_1158
.LBB3_1159:                             ;   in Loop: Header=BB3_5 Depth=1
	s_or_b32 exec_lo, exec_lo, s16
	global_load_b64 v[16:17], v1, s[10:11] offset:16
	s_mov_b32 s17, exec_lo
	s_mov_b32 s16, exec_lo
	v_mbcnt_lo_u32_b32 v0, s17, 0
	s_wait_xcnt 0x0
	s_delay_alu instid0(VALU_DEP_1)
	v_cmpx_eq_u32_e32 0, v0
	s_cbranch_execz .LBB3_1161
; %bb.1160:                             ;   in Loop: Header=BB3_5 Depth=1
	s_bcnt1_i32_b32 s17, s17
	s_delay_alu instid0(SALU_CYCLE_1)
	v_mov_b32_e32 v0, s17
	global_wb scope:SCOPE_SYS
	s_wait_loadcnt 0x0
	s_wait_storecnt 0x0
	global_atomic_add_u64 v[16:17], v[0:1], off offset:8 scope:SCOPE_SYS
.LBB3_1161:                             ;   in Loop: Header=BB3_5 Depth=1
	s_wait_xcnt 0x0
	s_or_b32 exec_lo, exec_lo, s16
	s_wait_loadcnt 0x0
	global_load_b64 v[18:19], v[16:17], off offset:16
	s_wait_loadcnt 0x0
	v_cmp_eq_u64_e32 vcc_lo, 0, v[18:19]
	s_cbranch_vccnz .LBB3_1163
; %bb.1162:                             ;   in Loop: Header=BB3_5 Depth=1
	global_load_b32 v0, v[16:17], off offset:24
	s_wait_loadcnt 0x0
	v_readfirstlane_b32 s16, v0
	global_wb scope:SCOPE_SYS
	s_wait_storecnt 0x0
	s_wait_xcnt 0x0
	global_store_b64 v[18:19], v[0:1], off scope:SCOPE_SYS
	s_and_b32 m0, s16, 0xffffff
	s_sendmsg sendmsg(MSG_INTERRUPT)
.LBB3_1163:                             ;   in Loop: Header=BB3_5 Depth=1
	s_wait_xcnt 0x0
	s_or_b32 exec_lo, exec_lo, s3
	v_mov_b32_e32 v43, v1
	s_delay_alu instid0(VALU_DEP_1)
	v_add_nc_u64_e32 v[16:17], v[22:23], v[42:43]
	s_branch .LBB3_1167
.LBB3_1164:                             ;   in Loop: Header=BB3_1167 Depth=2
	s_wait_xcnt 0x0
	s_or_b32 exec_lo, exec_lo, s3
	s_delay_alu instid0(VALU_DEP_1)
	v_readfirstlane_b32 s3, v0
	s_cmp_eq_u32 s3, 0
	s_cbranch_scc1 .LBB3_1166
; %bb.1165:                             ;   in Loop: Header=BB3_1167 Depth=2
	s_sleep 1
	s_cbranch_execnz .LBB3_1167
	s_branch .LBB3_1169
.LBB3_1166:                             ;   in Loop: Header=BB3_5 Depth=1
	s_branch .LBB3_1169
.LBB3_1167:                             ;   Parent Loop BB3_5 Depth=1
                                        ; =>  This Inner Loop Header: Depth=2
	v_mov_b32_e32 v0, 1
	s_and_saveexec_b32 s3, s2
	s_cbranch_execz .LBB3_1164
; %bb.1168:                             ;   in Loop: Header=BB3_1167 Depth=2
	global_load_b32 v0, v[6:7], off offset:20 scope:SCOPE_SYS
	s_wait_loadcnt 0x0
	global_inv scope:SCOPE_SYS
	v_and_b32_e32 v0, 1, v0
	s_branch .LBB3_1164
.LBB3_1169:                             ;   in Loop: Header=BB3_5 Depth=1
	global_load_b64 v[6:7], v[16:17], off
	s_wait_xcnt 0x0
	s_and_saveexec_b32 s16, s2
	s_cbranch_execz .LBB3_4
; %bb.1170:                             ;   in Loop: Header=BB3_5 Depth=1
	s_clause 0x2
	global_load_b64 v[16:17], v1, s[10:11] offset:40
	global_load_b64 v[24:25], v1, s[10:11] offset:24 scope:SCOPE_SYS
	global_load_b64 v[18:19], v1, s[10:11]
	s_wait_loadcnt 0x2
	v_readfirstlane_b32 s18, v16
	v_readfirstlane_b32 s19, v17
	s_add_nc_u64 s[2:3], s[18:19], 1
	s_delay_alu instid0(SALU_CYCLE_1) | instskip(NEXT) | instid1(SALU_CYCLE_1)
	s_add_nc_u64 s[14:15], s[2:3], s[14:15]
	s_cmp_eq_u64 s[14:15], 0
	s_cselect_b32 s3, s3, s15
	s_cselect_b32 s2, s2, s14
	s_delay_alu instid0(SALU_CYCLE_1) | instskip(SKIP_1) | instid1(SALU_CYCLE_1)
	v_dual_mov_b32 v23, s3 :: v_dual_mov_b32 v22, s2
	s_and_b64 s[14:15], s[2:3], s[18:19]
	s_mul_u64 s[14:15], s[14:15], 24
	s_wait_loadcnt 0x0
	v_add_nc_u64_e32 v[20:21], s[14:15], v[18:19]
	global_store_b64 v[20:21], v[24:25], off
	global_wb scope:SCOPE_SYS
	s_wait_storecnt 0x0
	s_wait_xcnt 0x0
	global_atomic_cmpswap_b64 v[18:19], v1, v[22:25], s[10:11] offset:24 th:TH_ATOMIC_RETURN scope:SCOPE_SYS
	s_wait_loadcnt 0x0
	v_cmp_ne_u64_e32 vcc_lo, v[18:19], v[24:25]
	s_and_b32 exec_lo, exec_lo, vcc_lo
	s_cbranch_execz .LBB3_4
; %bb.1171:                             ;   in Loop: Header=BB3_5 Depth=1
	s_mov_b32 s14, 0
.LBB3_1172:                             ;   Parent Loop BB3_5 Depth=1
                                        ; =>  This Inner Loop Header: Depth=2
	v_dual_mov_b32 v16, s2 :: v_dual_mov_b32 v17, s3
	s_sleep 1
	global_store_b64 v[20:21], v[18:19], off
	global_wb scope:SCOPE_SYS
	s_wait_storecnt 0x0
	s_wait_xcnt 0x0
	global_atomic_cmpswap_b64 v[16:17], v1, v[16:19], s[10:11] offset:24 th:TH_ATOMIC_RETURN scope:SCOPE_SYS
	s_wait_loadcnt 0x0
	v_cmp_eq_u64_e32 vcc_lo, v[16:17], v[18:19]
	v_mov_b64_e32 v[18:19], v[16:17]
	s_or_b32 s14, vcc_lo, s14
	s_delay_alu instid0(SALU_CYCLE_1)
	s_and_not1_b32 exec_lo, exec_lo, s14
	s_cbranch_execnz .LBB3_1172
	s_branch .LBB3_4
.LBB3_1173:
	s_load_b64 s[0:1], s[0:1], 0x8
	s_wait_kmcnt 0x0
	s_delay_alu instid0(VALU_DEP_2)
	v_lshl_add_u64 v[0:1], v[38:39], 2, s[0:1]
	global_store_b32 v[0:1], v41, off
	s_endpgm
	.section	.rodata,"a",@progbits
	.p2align	6, 0x0
	.amdhsa_kernel _ZN19hipPrintfStressTest25kernel_printf_variablestrEjPi
		.amdhsa_group_segment_fixed_size 0
		.amdhsa_private_segment_fixed_size 0
		.amdhsa_kernarg_size 272
		.amdhsa_user_sgpr_count 2
		.amdhsa_user_sgpr_dispatch_ptr 0
		.amdhsa_user_sgpr_queue_ptr 0
		.amdhsa_user_sgpr_kernarg_segment_ptr 1
		.amdhsa_user_sgpr_dispatch_id 0
		.amdhsa_user_sgpr_kernarg_preload_length 0
		.amdhsa_user_sgpr_kernarg_preload_offset 0
		.amdhsa_user_sgpr_private_segment_size 0
		.amdhsa_wavefront_size32 1
		.amdhsa_uses_dynamic_stack 0
		.amdhsa_enable_private_segment 0
		.amdhsa_system_sgpr_workgroup_id_x 1
		.amdhsa_system_sgpr_workgroup_id_y 0
		.amdhsa_system_sgpr_workgroup_id_z 0
		.amdhsa_system_sgpr_workgroup_info 0
		.amdhsa_system_vgpr_workitem_id 0
		.amdhsa_next_free_vgpr 56
		.amdhsa_next_free_sgpr 32
		.amdhsa_named_barrier_count 0
		.amdhsa_reserve_vcc 1
		.amdhsa_float_round_mode_32 0
		.amdhsa_float_round_mode_16_64 0
		.amdhsa_float_denorm_mode_32 3
		.amdhsa_float_denorm_mode_16_64 3
		.amdhsa_fp16_overflow 0
		.amdhsa_memory_ordered 1
		.amdhsa_forward_progress 1
		.amdhsa_inst_pref_size 255
		.amdhsa_round_robin_scheduling 0
		.amdhsa_exception_fp_ieee_invalid_op 0
		.amdhsa_exception_fp_denorm_src 0
		.amdhsa_exception_fp_ieee_div_zero 0
		.amdhsa_exception_fp_ieee_overflow 0
		.amdhsa_exception_fp_ieee_underflow 0
		.amdhsa_exception_fp_ieee_inexact 0
		.amdhsa_exception_int_div_zero 0
	.end_amdhsa_kernel
	.text
.Lfunc_end3:
	.size	_ZN19hipPrintfStressTest25kernel_printf_variablestrEjPi, .Lfunc_end3-_ZN19hipPrintfStressTest25kernel_printf_variablestrEjPi
                                        ; -- End function
	.set _ZN19hipPrintfStressTest25kernel_printf_variablestrEjPi.num_vgpr, 56
	.set _ZN19hipPrintfStressTest25kernel_printf_variablestrEjPi.num_agpr, 0
	.set _ZN19hipPrintfStressTest25kernel_printf_variablestrEjPi.numbered_sgpr, 32
	.set _ZN19hipPrintfStressTest25kernel_printf_variablestrEjPi.num_named_barrier, 0
	.set _ZN19hipPrintfStressTest25kernel_printf_variablestrEjPi.private_seg_size, 0
	.set _ZN19hipPrintfStressTest25kernel_printf_variablestrEjPi.uses_vcc, 1
	.set _ZN19hipPrintfStressTest25kernel_printf_variablestrEjPi.uses_flat_scratch, 0
	.set _ZN19hipPrintfStressTest25kernel_printf_variablestrEjPi.has_dyn_sized_stack, 0
	.set _ZN19hipPrintfStressTest25kernel_printf_variablestrEjPi.has_recursion, 0
	.set _ZN19hipPrintfStressTest25kernel_printf_variablestrEjPi.has_indirect_call, 0
	.section	.AMDGPU.csdata,"",@progbits
; Kernel info:
; codeLenInByte = 48084
; TotalNumSgprs: 34
; NumVgprs: 56
; ScratchSize: 0
; MemoryBound: 0
; FloatMode: 240
; IeeeMode: 1
; LDSByteSize: 0 bytes/workgroup (compile time only)
; SGPRBlocks: 0
; VGPRBlocks: 3
; NumSGPRsForWavesPerEU: 34
; NumVGPRsForWavesPerEU: 56
; NamedBarCnt: 0
; Occupancy: 16
; WaveLimiterHint : 1
; COMPUTE_PGM_RSRC2:SCRATCH_EN: 0
; COMPUTE_PGM_RSRC2:USER_SGPR: 2
; COMPUTE_PGM_RSRC2:TRAP_HANDLER: 0
; COMPUTE_PGM_RSRC2:TGID_X_EN: 1
; COMPUTE_PGM_RSRC2:TGID_Y_EN: 0
; COMPUTE_PGM_RSRC2:TGID_Z_EN: 0
; COMPUTE_PGM_RSRC2:TIDIG_COMP_CNT: 0
	.text
	.protected	_ZN19hipPrintfStressTest21kernel_dependent_calcEjPi ; -- Begin function _ZN19hipPrintfStressTest21kernel_dependent_calcEjPi
	.globl	_ZN19hipPrintfStressTest21kernel_dependent_calcEjPi
	.p2align	8
	.type	_ZN19hipPrintfStressTest21kernel_dependent_calcEjPi,@function
_ZN19hipPrintfStressTest21kernel_dependent_calcEjPi: ; @_ZN19hipPrintfStressTest21kernel_dependent_calcEjPi
; %bb.0:
	s_clause 0x1
	s_load_b32 s2, s[0:1], 0x1c
	s_load_b32 s24, s[0:1], 0x0
	s_bfe_u32 s3, ttmp6, 0x4000c
	s_and_b32 s4, ttmp6, 15
	s_add_co_i32 s3, s3, 1
	s_getreg_b32 s5, hwreg(HW_REG_IB_STS2, 6, 4)
	s_mul_i32 s3, ttmp9, s3
	s_delay_alu instid0(SALU_CYCLE_1)
	s_add_co_i32 s4, s4, s3
	s_wait_kmcnt 0x0
	s_and_b32 s2, s2, 0xffff
	s_cmp_eq_u32 s5, 0
	s_cselect_b32 s3, ttmp9, s4
	s_cmp_lt_i32 s24, 1
	v_mad_u32 v47, s3, s2, v0
	s_mov_b32 s4, 0
	s_cbranch_scc1 .LBB4_1067
; %bb.1:
	s_delay_alu instid0(VALU_DEP_1) | instskip(SKIP_3) | instid1(VALU_DEP_3)
	v_dual_mov_b32 v1, 0 :: v_dual_add_nc_u32 v58, 1, v47
	v_not_b32_e32 v2, v47
	s_add_nc_u64 s[2:3], s[0:1], 16
	v_mbcnt_lo_u32_b32 v46, -1, 0
	v_cvt_f32_u32_e32 v0, v58
	s_load_b64 s[12:13], s[2:3], 0x50
	s_mov_b32 s6, s4
	s_mov_b32 s7, s4
	v_dual_mov_b32 v53, v1 :: v_dual_lshlrev_b32 v50, 6, v46
	v_rcp_iflag_f32_e32 v0, v0
	s_mov_b32 s5, s4
	s_get_pc_i64 s[8:9]
	s_add_nc_u64 s[8:9], s[8:9], .str.7@rel64+4
	v_mov_b64_e32 v[14:15], s[6:7]
	v_mov_b64_e32 v[12:13], s[4:5]
	s_get_pc_i64 s[10:11]
	s_add_nc_u64 s[10:11], s[10:11], .str.6@rel64+4
	v_dual_mov_b32 v49, v1 :: v_dual_mul_f32 v0, 0x4f7ffffe, v0
	s_cmp_lg_u64 s[8:9], 0
	v_dual_mov_b32 v4, 33 :: v_dual_mov_b32 v8, 33
	v_dual_mov_b32 v9, v1 :: v_dual_mov_b32 v10, v1
	s_delay_alu instid0(VALU_DEP_3) | instskip(SKIP_3) | instid1(VALU_DEP_2)
	v_cvt_u32_f32_e32 v0, v0
	v_dual_mov_b32 v11, v1 :: v_dual_mov_b32 v52, v50
	s_cselect_b32 s25, -1, 0
	s_cmp_lg_u64 s[10:11], 0
	v_mul_lo_u32 v5, v2, v0
	v_mov_b64_e32 v[2:3], 0x100000002
	s_cselect_b32 s26, -1, 0
	s_mov_b32 s27, s4
	v_mov_b32_e32 v59, v1
	s_delay_alu instid0(VALU_DEP_3) | instskip(NEXT) | instid1(VALU_DEP_1)
	v_mul_hi_u32 v5, v0, v5
	v_add_nc_u32_e32 v48, v0, v5
	s_branch .LBB4_3
.LBB4_2:                                ;   in Loop: Header=BB4_3 Depth=1
	s_or_b32 exec_lo, exec_lo, s16
	v_add3_u32 v0, v59, v54, v56
	s_add_co_i32 s27, s27, 1
	s_delay_alu instid0(SALU_CYCLE_1) | instskip(SKIP_1) | instid1(VALU_DEP_1)
	s_cmp_eq_u32 s27, s24
	s_wait_loadcnt 0x0
	v_add3_u32 v59, v0, v38, v6
	s_cbranch_scc1 .LBB4_1068
.LBB4_3:                                ; =>This Loop Header: Depth=1
                                        ;     Child Loop BB4_6 Depth 2
                                        ;     Child Loop BB4_14 Depth 2
                                        ;     Child Loop BB4_23 Depth 2
                                        ;     Child Loop BB4_28 Depth 2
                                        ;     Child Loop BB4_191 Depth 2
                                        ;     Child Loop BB4_199 Depth 2
                                        ;     Child Loop BB4_208 Depth 2
                                        ;     Child Loop BB4_213 Depth 2
                                        ;     Child Loop BB4_32 Depth 2
                                        ;       Child Loop BB4_35 Depth 3
                                        ;       Child Loop BB4_42 Depth 3
                                        ;       Child Loop BB4_49 Depth 3
                                        ;       Child Loop BB4_56 Depth 3
                                        ;       Child Loop BB4_63 Depth 3
                                        ;       Child Loop BB4_70 Depth 3
                                        ;       Child Loop BB4_77 Depth 3
                                        ;       Child Loop BB4_84 Depth 3
                                        ;       Child Loop BB4_92 Depth 3
                                        ;       Child Loop BB4_101 Depth 3
                                        ;       Child Loop BB4_106 Depth 3
                                        ;     Child Loop BB4_219 Depth 2
                                        ;     Child Loop BB4_227 Depth 2
                                        ;     Child Loop BB4_236 Depth 2
                                        ;     Child Loop BB4_241 Depth 2
                                        ;     Child Loop BB4_111 Depth 2
                                        ;       Child Loop BB4_114 Depth 3
                                        ;       Child Loop BB4_121 Depth 3
                                        ;       Child Loop BB4_128 Depth 3
                                        ;       Child Loop BB4_135 Depth 3
                                        ;       Child Loop BB4_142 Depth 3
                                        ;       Child Loop BB4_149 Depth 3
                                        ;       Child Loop BB4_156 Depth 3
                                        ;       Child Loop BB4_163 Depth 3
                                        ;       Child Loop BB4_171 Depth 3
                                        ;       Child Loop BB4_180 Depth 3
                                        ;       Child Loop BB4_185 Depth 3
                                        ;     Child Loop BB4_246 Depth 2
                                        ;     Child Loop BB4_254 Depth 2
                                        ;     Child Loop BB4_263 Depth 2
                                        ;     Child Loop BB4_268 Depth 2
                                        ;     Child Loop BB4_272 Depth 2
                                        ;     Child Loop BB4_280 Depth 2
                                        ;     Child Loop BB4_289 Depth 2
                                        ;     Child Loop BB4_294 Depth 2
                                        ;     Child Loop BB4_457 Depth 2
                                        ;     Child Loop BB4_465 Depth 2
                                        ;     Child Loop BB4_474 Depth 2
                                        ;     Child Loop BB4_479 Depth 2
                                        ;     Child Loop BB4_298 Depth 2
                                        ;       Child Loop BB4_301 Depth 3
                                        ;       Child Loop BB4_308 Depth 3
                                        ;       Child Loop BB4_315 Depth 3
                                        ;       Child Loop BB4_322 Depth 3
                                        ;       Child Loop BB4_329 Depth 3
                                        ;       Child Loop BB4_336 Depth 3
                                        ;       Child Loop BB4_343 Depth 3
                                        ;       Child Loop BB4_350 Depth 3
                                        ;       Child Loop BB4_358 Depth 3
                                        ;       Child Loop BB4_367 Depth 3
                                        ;       Child Loop BB4_372 Depth 3
                                        ;     Child Loop BB4_485 Depth 2
                                        ;     Child Loop BB4_493 Depth 2
                                        ;     Child Loop BB4_502 Depth 2
                                        ;     Child Loop BB4_507 Depth 2
                                        ;     Child Loop BB4_377 Depth 2
                                        ;       Child Loop BB4_380 Depth 3
                                        ;       Child Loop BB4_387 Depth 3
                                        ;       Child Loop BB4_394 Depth 3
                                        ;       Child Loop BB4_401 Depth 3
                                        ;       Child Loop BB4_408 Depth 3
                                        ;       Child Loop BB4_415 Depth 3
                                        ;       Child Loop BB4_422 Depth 3
                                        ;       Child Loop BB4_429 Depth 3
                                        ;       Child Loop BB4_437 Depth 3
                                        ;       Child Loop BB4_446 Depth 3
                                        ;       Child Loop BB4_451 Depth 3
                                        ;     Child Loop BB4_512 Depth 2
                                        ;     Child Loop BB4_520 Depth 2
                                        ;     Child Loop BB4_529 Depth 2
                                        ;     Child Loop BB4_534 Depth 2
                                        ;     Child Loop BB4_538 Depth 2
                                        ;     Child Loop BB4_546 Depth 2
                                        ;     Child Loop BB4_555 Depth 2
                                        ;     Child Loop BB4_560 Depth 2
                                        ;     Child Loop BB4_723 Depth 2
                                        ;     Child Loop BB4_731 Depth 2
                                        ;     Child Loop BB4_740 Depth 2
                                        ;     Child Loop BB4_745 Depth 2
                                        ;     Child Loop BB4_564 Depth 2
                                        ;       Child Loop BB4_567 Depth 3
                                        ;       Child Loop BB4_574 Depth 3
                                        ;       Child Loop BB4_581 Depth 3
                                        ;       Child Loop BB4_588 Depth 3
                                        ;       Child Loop BB4_595 Depth 3
                                        ;       Child Loop BB4_602 Depth 3
                                        ;       Child Loop BB4_609 Depth 3
                                        ;       Child Loop BB4_616 Depth 3
                                        ;       Child Loop BB4_624 Depth 3
                                        ;       Child Loop BB4_633 Depth 3
                                        ;       Child Loop BB4_638 Depth 3
                                        ;     Child Loop BB4_751 Depth 2
                                        ;     Child Loop BB4_759 Depth 2
                                        ;     Child Loop BB4_768 Depth 2
                                        ;     Child Loop BB4_773 Depth 2
                                        ;     Child Loop BB4_643 Depth 2
                                        ;       Child Loop BB4_646 Depth 3
                                        ;       Child Loop BB4_653 Depth 3
                                        ;       Child Loop BB4_660 Depth 3
                                        ;       Child Loop BB4_667 Depth 3
                                        ;       Child Loop BB4_674 Depth 3
                                        ;       Child Loop BB4_681 Depth 3
                                        ;       Child Loop BB4_688 Depth 3
                                        ;       Child Loop BB4_695 Depth 3
                                        ;       Child Loop BB4_703 Depth 3
                                        ;       Child Loop BB4_712 Depth 3
                                        ;       Child Loop BB4_717 Depth 3
                                        ;     Child Loop BB4_778 Depth 2
                                        ;     Child Loop BB4_786 Depth 2
                                        ;     Child Loop BB4_795 Depth 2
                                        ;     Child Loop BB4_800 Depth 2
                                        ;     Child Loop BB4_804 Depth 2
                                        ;     Child Loop BB4_812 Depth 2
                                        ;     Child Loop BB4_821 Depth 2
                                        ;     Child Loop BB4_826 Depth 2
                                        ;     Child Loop BB4_989 Depth 2
                                        ;     Child Loop BB4_997 Depth 2
                                        ;     Child Loop BB4_1006 Depth 2
                                        ;     Child Loop BB4_1011 Depth 2
                                        ;     Child Loop BB4_830 Depth 2
                                        ;       Child Loop BB4_833 Depth 3
                                        ;       Child Loop BB4_840 Depth 3
                                        ;       Child Loop BB4_847 Depth 3
                                        ;       Child Loop BB4_854 Depth 3
                                        ;       Child Loop BB4_861 Depth 3
                                        ;       Child Loop BB4_868 Depth 3
                                        ;       Child Loop BB4_875 Depth 3
                                        ;       Child Loop BB4_882 Depth 3
                                        ;       Child Loop BB4_890 Depth 3
                                        ;       Child Loop BB4_899 Depth 3
                                        ;       Child Loop BB4_904 Depth 3
                                        ;     Child Loop BB4_1017 Depth 2
                                        ;     Child Loop BB4_1025 Depth 2
                                        ;     Child Loop BB4_1034 Depth 2
                                        ;     Child Loop BB4_1039 Depth 2
                                        ;     Child Loop BB4_909 Depth 2
                                        ;       Child Loop BB4_912 Depth 3
                                        ;       Child Loop BB4_919 Depth 3
                                        ;       Child Loop BB4_926 Depth 3
                                        ;       Child Loop BB4_933 Depth 3
                                        ;       Child Loop BB4_940 Depth 3
                                        ;       Child Loop BB4_947 Depth 3
                                        ;       Child Loop BB4_954 Depth 3
                                        ;       Child Loop BB4_961 Depth 3
                                        ;       Child Loop BB4_969 Depth 3
                                        ;       Child Loop BB4_978 Depth 3
                                        ;       Child Loop BB4_983 Depth 3
                                        ;     Child Loop BB4_1044 Depth 2
                                        ;     Child Loop BB4_1052 Depth 2
                                        ;     Child Loop BB4_1061 Depth 2
                                        ;     Child Loop BB4_1066 Depth 2
	s_wait_xcnt 0x0
	v_readfirstlane_b32 s2, v46
	v_mov_b64_e32 v[6:7], 0
	s_delay_alu instid0(VALU_DEP_2)
	v_cmp_eq_u32_e64 s2, s2, v46
	s_and_saveexec_b32 s3, s2
	s_cbranch_execz .LBB4_9
; %bb.4:                                ;   in Loop: Header=BB4_3 Depth=1
	s_wait_kmcnt 0x0
	global_load_b64 v[18:19], v1, s[12:13] offset:24 scope:SCOPE_SYS
	s_wait_loadcnt 0x0
	global_inv scope:SCOPE_SYS
	s_clause 0x1
	global_load_b64 v[6:7], v1, s[12:13] offset:40
	global_load_b64 v[16:17], v1, s[12:13]
	s_mov_b32 s14, exec_lo
	s_wait_loadcnt 0x1
	v_and_b32_e32 v6, v6, v18
	v_and_b32_e32 v7, v7, v19
	s_delay_alu instid0(VALU_DEP_1) | instskip(SKIP_1) | instid1(VALU_DEP_1)
	v_mul_u64_e32 v[6:7], 24, v[6:7]
	s_wait_loadcnt 0x0
	v_add_nc_u64_e32 v[6:7], v[16:17], v[6:7]
	global_load_b64 v[16:17], v[6:7], off scope:SCOPE_SYS
	s_wait_xcnt 0x0
	s_wait_loadcnt 0x0
	global_atomic_cmpswap_b64 v[6:7], v1, v[16:19], s[12:13] offset:24 th:TH_ATOMIC_RETURN scope:SCOPE_SYS
	s_wait_loadcnt 0x0
	global_inv scope:SCOPE_SYS
	s_wait_xcnt 0x0
	v_cmpx_ne_u64_e64 v[6:7], v[18:19]
	s_cbranch_execz .LBB4_8
; %bb.5:                                ;   in Loop: Header=BB4_3 Depth=1
	s_mov_b32 s15, 0
.LBB4_6:                                ;   Parent Loop BB4_3 Depth=1
                                        ; =>  This Inner Loop Header: Depth=2
	s_sleep 1
	s_clause 0x1
	global_load_b64 v[16:17], v1, s[12:13] offset:40
	global_load_b64 v[20:21], v1, s[12:13]
	v_mov_b64_e32 v[18:19], v[6:7]
	s_wait_loadcnt 0x1
	s_delay_alu instid0(VALU_DEP_1) | instskip(SKIP_1) | instid1(VALU_DEP_1)
	v_and_b32_e32 v0, v16, v18
	s_wait_loadcnt 0x0
	v_mad_nc_u64_u32 v[6:7], v0, 24, v[20:21]
	s_delay_alu instid0(VALU_DEP_3) | instskip(NEXT) | instid1(VALU_DEP_1)
	v_and_b32_e32 v0, v17, v19
	v_mad_u32 v7, v0, 24, v7
	global_load_b64 v[16:17], v[6:7], off scope:SCOPE_SYS
	s_wait_xcnt 0x0
	s_wait_loadcnt 0x0
	global_atomic_cmpswap_b64 v[6:7], v1, v[16:19], s[12:13] offset:24 th:TH_ATOMIC_RETURN scope:SCOPE_SYS
	s_wait_loadcnt 0x0
	global_inv scope:SCOPE_SYS
	v_cmp_eq_u64_e32 vcc_lo, v[6:7], v[18:19]
	s_or_b32 s15, vcc_lo, s15
	s_wait_xcnt 0x0
	s_and_not1_b32 exec_lo, exec_lo, s15
	s_cbranch_execnz .LBB4_6
; %bb.7:                                ;   in Loop: Header=BB4_3 Depth=1
	s_or_b32 exec_lo, exec_lo, s15
.LBB4_8:                                ;   in Loop: Header=BB4_3 Depth=1
	s_delay_alu instid0(SALU_CYCLE_1)
	s_or_b32 exec_lo, exec_lo, s14
.LBB4_9:                                ;   in Loop: Header=BB4_3 Depth=1
	s_delay_alu instid0(SALU_CYCLE_1)
	s_or_b32 exec_lo, exec_lo, s3
	s_wait_kmcnt 0x0
	s_clause 0x1
	global_load_b64 v[20:21], v1, s[12:13] offset:40
	global_load_b128 v[16:19], v1, s[12:13]
	v_readfirstlane_b32 s14, v6
	v_readfirstlane_b32 s15, v7
	s_mov_b32 s3, exec_lo
	s_wait_loadcnt 0x1
	v_and_b32_e32 v20, s14, v20
	v_and_b32_e32 v21, s15, v21
	s_delay_alu instid0(VALU_DEP_1) | instskip(SKIP_1) | instid1(VALU_DEP_1)
	v_mul_u64_e32 v[6:7], 24, v[20:21]
	s_wait_loadcnt 0x0
	v_add_nc_u64_e32 v[6:7], v[16:17], v[6:7]
	s_wait_xcnt 0x0
	s_and_saveexec_b32 s16, s2
	s_cbranch_execz .LBB4_11
; %bb.10:                               ;   in Loop: Header=BB4_3 Depth=1
	v_mov_b32_e32 v0, s3
	global_store_b128 v[6:7], v[0:3], off offset:8
.LBB4_11:                               ;   in Loop: Header=BB4_3 Depth=1
	s_wait_xcnt 0x0
	s_or_b32 exec_lo, exec_lo, s16
	v_lshlrev_b64_e32 v[20:21], 12, v[20:21]
	s_delay_alu instid0(VALU_DEP_1) | instskip(NEXT) | instid1(VALU_DEP_1)
	v_add_nc_u64_e32 v[20:21], v[18:19], v[20:21]
	v_readfirstlane_b32 s16, v20
	s_delay_alu instid0(VALU_DEP_2)
	v_readfirstlane_b32 s17, v21
	s_clause 0x3
	global_store_b128 v50, v[8:11], s[16:17]
	global_store_b128 v50, v[12:15], s[16:17] offset:16
	global_store_b128 v50, v[12:15], s[16:17] offset:32
	;; [unrolled: 1-line block ×3, first 2 shown]
	s_wait_xcnt 0x0
	s_and_saveexec_b32 s3, s2
	s_cbranch_execz .LBB4_19
; %bb.12:                               ;   in Loop: Header=BB4_3 Depth=1
	s_clause 0x1
	global_load_b64 v[26:27], v1, s[12:13] offset:32 scope:SCOPE_SYS
	global_load_b64 v[18:19], v1, s[12:13] offset:40
	s_mov_b32 s16, exec_lo
	v_dual_mov_b32 v24, s14 :: v_dual_mov_b32 v25, s15
	s_wait_loadcnt 0x0
	v_and_b32_e32 v19, s15, v19
	v_and_b32_e32 v18, s14, v18
	s_delay_alu instid0(VALU_DEP_1) | instskip(NEXT) | instid1(VALU_DEP_1)
	v_mul_u64_e32 v[18:19], 24, v[18:19]
	v_add_nc_u64_e32 v[22:23], v[16:17], v[18:19]
	global_store_b64 v[22:23], v[26:27], off
	global_wb scope:SCOPE_SYS
	s_wait_storecnt 0x0
	s_wait_xcnt 0x0
	global_atomic_cmpswap_b64 v[18:19], v1, v[24:27], s[12:13] offset:32 th:TH_ATOMIC_RETURN scope:SCOPE_SYS
	s_wait_loadcnt 0x0
	s_wait_xcnt 0x0
	v_cmpx_ne_u64_e64 v[18:19], v[26:27]
	s_cbranch_execz .LBB4_15
; %bb.13:                               ;   in Loop: Header=BB4_3 Depth=1
	s_mov_b32 s17, 0
.LBB4_14:                               ;   Parent Loop BB4_3 Depth=1
                                        ; =>  This Inner Loop Header: Depth=2
	v_dual_mov_b32 v16, s14 :: v_dual_mov_b32 v17, s15
	s_sleep 1
	global_store_b64 v[22:23], v[18:19], off
	global_wb scope:SCOPE_SYS
	s_wait_storecnt 0x0
	s_wait_xcnt 0x0
	global_atomic_cmpswap_b64 v[16:17], v1, v[16:19], s[12:13] offset:32 th:TH_ATOMIC_RETURN scope:SCOPE_SYS
	s_wait_loadcnt 0x0
	v_cmp_eq_u64_e32 vcc_lo, v[16:17], v[18:19]
	v_mov_b64_e32 v[18:19], v[16:17]
	s_or_b32 s17, vcc_lo, s17
	s_delay_alu instid0(SALU_CYCLE_1)
	s_and_not1_b32 exec_lo, exec_lo, s17
	s_cbranch_execnz .LBB4_14
.LBB4_15:                               ;   in Loop: Header=BB4_3 Depth=1
	s_or_b32 exec_lo, exec_lo, s16
	global_load_b64 v[16:17], v1, s[12:13] offset:16
	s_mov_b32 s17, exec_lo
	s_mov_b32 s16, exec_lo
	v_mbcnt_lo_u32_b32 v0, s17, 0
	s_wait_xcnt 0x0
	s_delay_alu instid0(VALU_DEP_1)
	v_cmpx_eq_u32_e32 0, v0
	s_cbranch_execz .LBB4_17
; %bb.16:                               ;   in Loop: Header=BB4_3 Depth=1
	s_bcnt1_i32_b32 s17, s17
	s_delay_alu instid0(SALU_CYCLE_1)
	v_mov_b32_e32 v0, s17
	global_wb scope:SCOPE_SYS
	s_wait_loadcnt 0x0
	s_wait_storecnt 0x0
	global_atomic_add_u64 v[16:17], v[0:1], off offset:8 scope:SCOPE_SYS
.LBB4_17:                               ;   in Loop: Header=BB4_3 Depth=1
	s_wait_xcnt 0x0
	s_or_b32 exec_lo, exec_lo, s16
	s_wait_loadcnt 0x0
	global_load_b64 v[18:19], v[16:17], off offset:16
	s_wait_loadcnt 0x0
	v_cmp_eq_u64_e32 vcc_lo, 0, v[18:19]
	s_cbranch_vccnz .LBB4_19
; %bb.18:                               ;   in Loop: Header=BB4_3 Depth=1
	global_load_b32 v0, v[16:17], off offset:24
	s_wait_loadcnt 0x0
	v_readfirstlane_b32 s16, v0
	global_wb scope:SCOPE_SYS
	s_wait_storecnt 0x0
	s_wait_xcnt 0x0
	global_store_b64 v[18:19], v[0:1], off scope:SCOPE_SYS
	s_and_b32 m0, s16, 0xffffff
	s_sendmsg sendmsg(MSG_INTERRUPT)
.LBB4_19:                               ;   in Loop: Header=BB4_3 Depth=1
	s_wait_xcnt 0x0
	s_or_b32 exec_lo, exec_lo, s3
	v_add_nc_u64_e32 v[16:17], v[20:21], v[52:53]
	s_branch .LBB4_23
.LBB4_20:                               ;   in Loop: Header=BB4_23 Depth=2
	s_wait_xcnt 0x0
	s_or_b32 exec_lo, exec_lo, s3
	s_delay_alu instid0(VALU_DEP_1)
	v_readfirstlane_b32 s3, v0
	s_cmp_eq_u32 s3, 0
	s_cbranch_scc1 .LBB4_22
; %bb.21:                               ;   in Loop: Header=BB4_23 Depth=2
	s_sleep 1
	s_cbranch_execnz .LBB4_23
	s_branch .LBB4_25
.LBB4_22:                               ;   in Loop: Header=BB4_3 Depth=1
	s_branch .LBB4_25
.LBB4_23:                               ;   Parent Loop BB4_3 Depth=1
                                        ; =>  This Inner Loop Header: Depth=2
	v_mov_b32_e32 v0, 1
	s_and_saveexec_b32 s3, s2
	s_cbranch_execz .LBB4_20
; %bb.24:                               ;   in Loop: Header=BB4_23 Depth=2
	global_load_b32 v0, v[6:7], off offset:20 scope:SCOPE_SYS
	s_wait_loadcnt 0x0
	global_inv scope:SCOPE_SYS
	v_and_b32_e32 v0, 1, v0
	s_branch .LBB4_20
.LBB4_25:                               ;   in Loop: Header=BB4_3 Depth=1
	global_load_b64 v[16:17], v[16:17], off
	s_wait_xcnt 0x0
	s_and_saveexec_b32 s16, s2
	s_cbranch_execz .LBB4_29
; %bb.26:                               ;   in Loop: Header=BB4_3 Depth=1
	s_clause 0x2
	global_load_b64 v[6:7], v1, s[12:13] offset:40
	global_load_b64 v[22:23], v1, s[12:13] offset:24 scope:SCOPE_SYS
	global_load_b64 v[18:19], v1, s[12:13]
	s_wait_loadcnt 0x2
	v_readfirstlane_b32 s18, v6
	v_readfirstlane_b32 s19, v7
	s_add_nc_u64 s[2:3], s[18:19], 1
	s_delay_alu instid0(SALU_CYCLE_1) | instskip(NEXT) | instid1(SALU_CYCLE_1)
	s_add_nc_u64 s[14:15], s[2:3], s[14:15]
	s_cmp_eq_u64 s[14:15], 0
	s_cselect_b32 s3, s3, s15
	s_cselect_b32 s2, s2, s14
	s_delay_alu instid0(SALU_CYCLE_1) | instskip(SKIP_1) | instid1(SALU_CYCLE_1)
	v_dual_mov_b32 v21, s3 :: v_dual_mov_b32 v20, s2
	s_and_b64 s[14:15], s[2:3], s[18:19]
	s_mul_u64 s[14:15], s[14:15], 24
	s_wait_loadcnt 0x0
	v_add_nc_u64_e32 v[6:7], s[14:15], v[18:19]
	global_store_b64 v[6:7], v[22:23], off
	global_wb scope:SCOPE_SYS
	s_wait_storecnt 0x0
	s_wait_xcnt 0x0
	global_atomic_cmpswap_b64 v[20:21], v1, v[20:23], s[12:13] offset:24 th:TH_ATOMIC_RETURN scope:SCOPE_SYS
	s_wait_loadcnt 0x0
	v_cmp_ne_u64_e32 vcc_lo, v[20:21], v[22:23]
	s_wait_xcnt 0x0
	s_and_b32 exec_lo, exec_lo, vcc_lo
	s_cbranch_execz .LBB4_29
; %bb.27:                               ;   in Loop: Header=BB4_3 Depth=1
	s_mov_b32 s14, 0
.LBB4_28:                               ;   Parent Loop BB4_3 Depth=1
                                        ; =>  This Inner Loop Header: Depth=2
	v_dual_mov_b32 v18, s2 :: v_dual_mov_b32 v19, s3
	s_sleep 1
	global_store_b64 v[6:7], v[20:21], off
	global_wb scope:SCOPE_SYS
	s_wait_storecnt 0x0
	s_wait_xcnt 0x0
	global_atomic_cmpswap_b64 v[18:19], v1, v[18:21], s[12:13] offset:24 th:TH_ATOMIC_RETURN scope:SCOPE_SYS
	s_wait_loadcnt 0x0
	v_cmp_eq_u64_e32 vcc_lo, v[18:19], v[20:21]
	s_wait_xcnt 0x0
	v_mov_b64_e32 v[20:21], v[18:19]
	s_or_b32 s14, vcc_lo, s14
	s_delay_alu instid0(SALU_CYCLE_1)
	s_and_not1_b32 exec_lo, exec_lo, s14
	s_cbranch_execnz .LBB4_28
.LBB4_29:                               ;   in Loop: Header=BB4_3 Depth=1
	s_or_b32 exec_lo, exec_lo, s16
	s_delay_alu instid0(SALU_CYCLE_1)
	s_and_b32 vcc_lo, exec_lo, s25
	s_cbranch_vccz .LBB4_187
; %bb.30:                               ;   in Loop: Header=BB4_3 Depth=1
	s_wait_loadcnt 0x0
	v_dual_mov_b32 v21, v17 :: v_dual_bitop2_b32 v6, 2, v16 bitop3:0x40
	v_and_b32_e32 v20, -3, v16
	s_mov_b64 s[14:15], 6
	s_mov_b64 s[16:17], s[8:9]
	s_branch .LBB4_32
.LBB4_31:                               ;   in Loop: Header=BB4_32 Depth=2
	s_or_b32 exec_lo, exec_lo, s22
	s_sub_nc_u64 s[14:15], s[14:15], s[18:19]
	s_add_nc_u64 s[16:17], s[16:17], s[18:19]
	s_cmp_lg_u64 s[14:15], 0
	s_cbranch_scc0 .LBB4_107
.LBB4_32:                               ;   Parent Loop BB4_3 Depth=1
                                        ; =>  This Loop Header: Depth=2
                                        ;       Child Loop BB4_35 Depth 3
                                        ;       Child Loop BB4_42 Depth 3
                                        ;       Child Loop BB4_49 Depth 3
                                        ;       Child Loop BB4_56 Depth 3
                                        ;       Child Loop BB4_63 Depth 3
                                        ;       Child Loop BB4_70 Depth 3
                                        ;       Child Loop BB4_77 Depth 3
                                        ;       Child Loop BB4_84 Depth 3
                                        ;       Child Loop BB4_92 Depth 3
                                        ;       Child Loop BB4_101 Depth 3
                                        ;       Child Loop BB4_106 Depth 3
	v_min_u64 v[18:19], s[14:15], 56
	v_cmp_gt_u64_e64 s2, s[14:15], 7
	s_and_b32 vcc_lo, exec_lo, s2
	v_readfirstlane_b32 s18, v18
	v_readfirstlane_b32 s19, v19
	s_cbranch_vccnz .LBB4_37
; %bb.33:                               ;   in Loop: Header=BB4_32 Depth=2
	v_mov_b64_e32 v[22:23], 0
	s_cmp_eq_u64 s[14:15], 0
	s_cbranch_scc1 .LBB4_36
; %bb.34:                               ;   in Loop: Header=BB4_32 Depth=2
	s_mov_b64 s[2:3], 0
	s_mov_b64 s[20:21], 0
.LBB4_35:                               ;   Parent Loop BB4_3 Depth=1
                                        ;     Parent Loop BB4_32 Depth=2
                                        ; =>    This Inner Loop Header: Depth=3
	s_wait_xcnt 0x0
	s_add_nc_u64 s[22:23], s[16:17], s[20:21]
	s_add_nc_u64 s[20:21], s[20:21], 1
	global_load_u8 v0, v1, s[22:23]
	s_cmp_lg_u32 s18, s20
	s_wait_loadcnt 0x0
	v_and_b32_e32 v0, 0xffff, v0
	s_delay_alu instid0(VALU_DEP_1) | instskip(SKIP_1) | instid1(VALU_DEP_1)
	v_lshlrev_b64_e32 v[18:19], s2, v[0:1]
	s_add_nc_u64 s[2:3], s[2:3], 8
	v_or_b32_e32 v22, v18, v22
	s_delay_alu instid0(VALU_DEP_2)
	v_or_b32_e32 v23, v19, v23
	s_cbranch_scc1 .LBB4_35
.LBB4_36:                               ;   in Loop: Header=BB4_32 Depth=2
	s_mov_b64 s[2:3], s[16:17]
	s_mov_b32 s28, 0
	s_cbranch_execz .LBB4_38
	s_branch .LBB4_39
.LBB4_37:                               ;   in Loop: Header=BB4_32 Depth=2
	s_add_nc_u64 s[2:3], s[16:17], 8
	s_mov_b32 s28, 0
.LBB4_38:                               ;   in Loop: Header=BB4_32 Depth=2
	global_load_b64 v[22:23], v1, s[16:17]
	s_add_co_i32 s28, s18, -8
.LBB4_39:                               ;   in Loop: Header=BB4_32 Depth=2
	s_delay_alu instid0(SALU_CYCLE_1)
	s_cmp_gt_u32 s28, 7
	s_cbranch_scc1 .LBB4_44
; %bb.40:                               ;   in Loop: Header=BB4_32 Depth=2
	v_mov_b64_e32 v[24:25], 0
	s_cmp_eq_u32 s28, 0
	s_cbranch_scc1 .LBB4_43
; %bb.41:                               ;   in Loop: Header=BB4_32 Depth=2
	s_mov_b64 s[20:21], 0
	s_wait_xcnt 0x0
	s_mov_b64 s[22:23], 0
.LBB4_42:                               ;   Parent Loop BB4_3 Depth=1
                                        ;     Parent Loop BB4_32 Depth=2
                                        ; =>    This Inner Loop Header: Depth=3
	s_wait_xcnt 0x0
	s_add_nc_u64 s[30:31], s[2:3], s[22:23]
	s_add_nc_u64 s[22:23], s[22:23], 1
	global_load_u8 v0, v1, s[30:31]
	s_cmp_lg_u32 s28, s22
	s_wait_loadcnt 0x0
	v_and_b32_e32 v0, 0xffff, v0
	s_delay_alu instid0(VALU_DEP_1) | instskip(SKIP_1) | instid1(VALU_DEP_1)
	v_lshlrev_b64_e32 v[18:19], s20, v[0:1]
	s_add_nc_u64 s[20:21], s[20:21], 8
	v_or_b32_e32 v24, v18, v24
	s_delay_alu instid0(VALU_DEP_2)
	v_or_b32_e32 v25, v19, v25
	s_cbranch_scc1 .LBB4_42
.LBB4_43:                               ;   in Loop: Header=BB4_32 Depth=2
	s_wait_xcnt 0x0
	s_mov_b64 s[20:21], s[2:3]
	s_mov_b32 s29, 0
	s_cbranch_execz .LBB4_45
	s_branch .LBB4_46
.LBB4_44:                               ;   in Loop: Header=BB4_32 Depth=2
	s_add_nc_u64 s[20:21], s[2:3], 8
	s_wait_xcnt 0x0
                                        ; implicit-def: $vgpr24_vgpr25
	s_mov_b32 s29, 0
.LBB4_45:                               ;   in Loop: Header=BB4_32 Depth=2
	global_load_b64 v[24:25], v1, s[2:3]
	s_add_co_i32 s29, s28, -8
.LBB4_46:                               ;   in Loop: Header=BB4_32 Depth=2
	s_delay_alu instid0(SALU_CYCLE_1)
	s_cmp_gt_u32 s29, 7
	s_cbranch_scc1 .LBB4_51
; %bb.47:                               ;   in Loop: Header=BB4_32 Depth=2
	v_mov_b64_e32 v[26:27], 0
	s_cmp_eq_u32 s29, 0
	s_cbranch_scc1 .LBB4_50
; %bb.48:                               ;   in Loop: Header=BB4_32 Depth=2
	s_wait_xcnt 0x0
	s_mov_b64 s[2:3], 0
	s_mov_b64 s[22:23], 0
.LBB4_49:                               ;   Parent Loop BB4_3 Depth=1
                                        ;     Parent Loop BB4_32 Depth=2
                                        ; =>    This Inner Loop Header: Depth=3
	s_wait_xcnt 0x0
	s_add_nc_u64 s[30:31], s[20:21], s[22:23]
	s_add_nc_u64 s[22:23], s[22:23], 1
	global_load_u8 v0, v1, s[30:31]
	s_cmp_lg_u32 s29, s22
	s_wait_loadcnt 0x0
	v_and_b32_e32 v0, 0xffff, v0
	s_delay_alu instid0(VALU_DEP_1) | instskip(SKIP_1) | instid1(VALU_DEP_1)
	v_lshlrev_b64_e32 v[18:19], s2, v[0:1]
	s_add_nc_u64 s[2:3], s[2:3], 8
	v_or_b32_e32 v26, v18, v26
	s_delay_alu instid0(VALU_DEP_2)
	v_or_b32_e32 v27, v19, v27
	s_cbranch_scc1 .LBB4_49
.LBB4_50:                               ;   in Loop: Header=BB4_32 Depth=2
	s_wait_xcnt 0x0
	s_mov_b64 s[2:3], s[20:21]
	s_mov_b32 s28, 0
	s_cbranch_execz .LBB4_52
	s_branch .LBB4_53
.LBB4_51:                               ;   in Loop: Header=BB4_32 Depth=2
	s_wait_xcnt 0x0
	s_add_nc_u64 s[2:3], s[20:21], 8
	s_mov_b32 s28, 0
.LBB4_52:                               ;   in Loop: Header=BB4_32 Depth=2
	global_load_b64 v[26:27], v1, s[20:21]
	s_add_co_i32 s28, s29, -8
.LBB4_53:                               ;   in Loop: Header=BB4_32 Depth=2
	s_delay_alu instid0(SALU_CYCLE_1)
	s_cmp_gt_u32 s28, 7
	s_cbranch_scc1 .LBB4_58
; %bb.54:                               ;   in Loop: Header=BB4_32 Depth=2
	v_mov_b64_e32 v[28:29], 0
	s_cmp_eq_u32 s28, 0
	s_cbranch_scc1 .LBB4_57
; %bb.55:                               ;   in Loop: Header=BB4_32 Depth=2
	s_wait_xcnt 0x0
	s_mov_b64 s[20:21], 0
	s_mov_b64 s[22:23], 0
.LBB4_56:                               ;   Parent Loop BB4_3 Depth=1
                                        ;     Parent Loop BB4_32 Depth=2
                                        ; =>    This Inner Loop Header: Depth=3
	s_wait_xcnt 0x0
	s_add_nc_u64 s[30:31], s[2:3], s[22:23]
	s_add_nc_u64 s[22:23], s[22:23], 1
	global_load_u8 v0, v1, s[30:31]
	s_cmp_lg_u32 s28, s22
	s_wait_loadcnt 0x0
	v_and_b32_e32 v0, 0xffff, v0
	s_delay_alu instid0(VALU_DEP_1) | instskip(SKIP_1) | instid1(VALU_DEP_1)
	v_lshlrev_b64_e32 v[18:19], s20, v[0:1]
	s_add_nc_u64 s[20:21], s[20:21], 8
	v_or_b32_e32 v28, v18, v28
	s_delay_alu instid0(VALU_DEP_2)
	v_or_b32_e32 v29, v19, v29
	s_cbranch_scc1 .LBB4_56
.LBB4_57:                               ;   in Loop: Header=BB4_32 Depth=2
	s_wait_xcnt 0x0
	s_mov_b64 s[20:21], s[2:3]
	s_mov_b32 s29, 0
	s_cbranch_execz .LBB4_59
	s_branch .LBB4_60
.LBB4_58:                               ;   in Loop: Header=BB4_32 Depth=2
	s_wait_xcnt 0x0
	s_add_nc_u64 s[20:21], s[2:3], 8
                                        ; implicit-def: $vgpr28_vgpr29
	s_mov_b32 s29, 0
.LBB4_59:                               ;   in Loop: Header=BB4_32 Depth=2
	global_load_b64 v[28:29], v1, s[2:3]
	s_add_co_i32 s29, s28, -8
.LBB4_60:                               ;   in Loop: Header=BB4_32 Depth=2
	s_delay_alu instid0(SALU_CYCLE_1)
	s_cmp_gt_u32 s29, 7
	s_cbranch_scc1 .LBB4_65
; %bb.61:                               ;   in Loop: Header=BB4_32 Depth=2
	v_mov_b64_e32 v[30:31], 0
	s_cmp_eq_u32 s29, 0
	s_cbranch_scc1 .LBB4_64
; %bb.62:                               ;   in Loop: Header=BB4_32 Depth=2
	s_wait_xcnt 0x0
	s_mov_b64 s[2:3], 0
	s_mov_b64 s[22:23], 0
.LBB4_63:                               ;   Parent Loop BB4_3 Depth=1
                                        ;     Parent Loop BB4_32 Depth=2
                                        ; =>    This Inner Loop Header: Depth=3
	s_wait_xcnt 0x0
	s_add_nc_u64 s[30:31], s[20:21], s[22:23]
	s_add_nc_u64 s[22:23], s[22:23], 1
	global_load_u8 v0, v1, s[30:31]
	s_cmp_lg_u32 s29, s22
	s_wait_loadcnt 0x0
	v_and_b32_e32 v0, 0xffff, v0
	s_delay_alu instid0(VALU_DEP_1) | instskip(SKIP_1) | instid1(VALU_DEP_1)
	v_lshlrev_b64_e32 v[18:19], s2, v[0:1]
	s_add_nc_u64 s[2:3], s[2:3], 8
	v_or_b32_e32 v30, v18, v30
	s_delay_alu instid0(VALU_DEP_2)
	v_or_b32_e32 v31, v19, v31
	s_cbranch_scc1 .LBB4_63
.LBB4_64:                               ;   in Loop: Header=BB4_32 Depth=2
	s_wait_xcnt 0x0
	s_mov_b64 s[2:3], s[20:21]
	s_mov_b32 s28, 0
	s_cbranch_execz .LBB4_66
	s_branch .LBB4_67
.LBB4_65:                               ;   in Loop: Header=BB4_32 Depth=2
	s_wait_xcnt 0x0
	s_add_nc_u64 s[2:3], s[20:21], 8
	s_mov_b32 s28, 0
.LBB4_66:                               ;   in Loop: Header=BB4_32 Depth=2
	global_load_b64 v[30:31], v1, s[20:21]
	s_add_co_i32 s28, s29, -8
.LBB4_67:                               ;   in Loop: Header=BB4_32 Depth=2
	s_delay_alu instid0(SALU_CYCLE_1)
	s_cmp_gt_u32 s28, 7
	s_cbranch_scc1 .LBB4_72
; %bb.68:                               ;   in Loop: Header=BB4_32 Depth=2
	v_mov_b64_e32 v[32:33], 0
	s_cmp_eq_u32 s28, 0
	s_cbranch_scc1 .LBB4_71
; %bb.69:                               ;   in Loop: Header=BB4_32 Depth=2
	s_wait_xcnt 0x0
	s_mov_b64 s[20:21], 0
	s_mov_b64 s[22:23], 0
.LBB4_70:                               ;   Parent Loop BB4_3 Depth=1
                                        ;     Parent Loop BB4_32 Depth=2
                                        ; =>    This Inner Loop Header: Depth=3
	s_wait_xcnt 0x0
	s_add_nc_u64 s[30:31], s[2:3], s[22:23]
	s_add_nc_u64 s[22:23], s[22:23], 1
	global_load_u8 v0, v1, s[30:31]
	s_cmp_lg_u32 s28, s22
	s_wait_loadcnt 0x0
	v_and_b32_e32 v0, 0xffff, v0
	s_delay_alu instid0(VALU_DEP_1) | instskip(SKIP_1) | instid1(VALU_DEP_1)
	v_lshlrev_b64_e32 v[18:19], s20, v[0:1]
	s_add_nc_u64 s[20:21], s[20:21], 8
	v_or_b32_e32 v32, v18, v32
	s_delay_alu instid0(VALU_DEP_2)
	v_or_b32_e32 v33, v19, v33
	s_cbranch_scc1 .LBB4_70
.LBB4_71:                               ;   in Loop: Header=BB4_32 Depth=2
	s_wait_xcnt 0x0
	s_mov_b64 s[20:21], s[2:3]
	s_mov_b32 s29, 0
	s_cbranch_execz .LBB4_73
	s_branch .LBB4_74
.LBB4_72:                               ;   in Loop: Header=BB4_32 Depth=2
	s_wait_xcnt 0x0
	s_add_nc_u64 s[20:21], s[2:3], 8
                                        ; implicit-def: $vgpr32_vgpr33
	s_mov_b32 s29, 0
.LBB4_73:                               ;   in Loop: Header=BB4_32 Depth=2
	global_load_b64 v[32:33], v1, s[2:3]
	s_add_co_i32 s29, s28, -8
.LBB4_74:                               ;   in Loop: Header=BB4_32 Depth=2
	s_delay_alu instid0(SALU_CYCLE_1)
	s_cmp_gt_u32 s29, 7
	s_cbranch_scc1 .LBB4_79
; %bb.75:                               ;   in Loop: Header=BB4_32 Depth=2
	v_mov_b64_e32 v[34:35], 0
	s_cmp_eq_u32 s29, 0
	s_cbranch_scc1 .LBB4_78
; %bb.76:                               ;   in Loop: Header=BB4_32 Depth=2
	s_wait_xcnt 0x0
	s_mov_b64 s[2:3], 0
	s_mov_b64 s[22:23], s[20:21]
.LBB4_77:                               ;   Parent Loop BB4_3 Depth=1
                                        ;     Parent Loop BB4_32 Depth=2
                                        ; =>    This Inner Loop Header: Depth=3
	global_load_u8 v0, v1, s[22:23]
	s_add_co_i32 s29, s29, -1
	s_wait_xcnt 0x0
	s_add_nc_u64 s[22:23], s[22:23], 1
	s_cmp_lg_u32 s29, 0
	s_wait_loadcnt 0x0
	v_and_b32_e32 v0, 0xffff, v0
	s_delay_alu instid0(VALU_DEP_1) | instskip(SKIP_1) | instid1(VALU_DEP_1)
	v_lshlrev_b64_e32 v[18:19], s2, v[0:1]
	s_add_nc_u64 s[2:3], s[2:3], 8
	v_or_b32_e32 v34, v18, v34
	s_delay_alu instid0(VALU_DEP_2)
	v_or_b32_e32 v35, v19, v35
	s_cbranch_scc1 .LBB4_77
.LBB4_78:                               ;   in Loop: Header=BB4_32 Depth=2
	s_wait_xcnt 0x0
	s_cbranch_execz .LBB4_80
	s_branch .LBB4_81
.LBB4_79:                               ;   in Loop: Header=BB4_32 Depth=2
	s_wait_xcnt 0x0
.LBB4_80:                               ;   in Loop: Header=BB4_32 Depth=2
	global_load_b64 v[34:35], v1, s[20:21]
.LBB4_81:                               ;   in Loop: Header=BB4_32 Depth=2
	v_readfirstlane_b32 s2, v46
	v_mov_b64_e32 v[18:19], 0
	s_delay_alu instid0(VALU_DEP_2)
	v_cmp_eq_u32_e64 s2, s2, v46
	s_wait_xcnt 0x0
	s_and_saveexec_b32 s3, s2
	s_cbranch_execz .LBB4_87
; %bb.82:                               ;   in Loop: Header=BB4_32 Depth=2
	global_load_b64 v[38:39], v1, s[12:13] offset:24 scope:SCOPE_SYS
	s_wait_loadcnt 0x0
	global_inv scope:SCOPE_SYS
	s_clause 0x1
	global_load_b64 v[18:19], v1, s[12:13] offset:40
	global_load_b64 v[36:37], v1, s[12:13]
	s_mov_b32 s20, exec_lo
	s_wait_loadcnt 0x1
	v_and_b32_e32 v18, v18, v38
	v_and_b32_e32 v19, v19, v39
	s_delay_alu instid0(VALU_DEP_1) | instskip(SKIP_1) | instid1(VALU_DEP_1)
	v_mul_u64_e32 v[18:19], 24, v[18:19]
	s_wait_loadcnt 0x0
	v_add_nc_u64_e32 v[18:19], v[36:37], v[18:19]
	global_load_b64 v[36:37], v[18:19], off scope:SCOPE_SYS
	s_wait_xcnt 0x0
	s_wait_loadcnt 0x0
	global_atomic_cmpswap_b64 v[18:19], v1, v[36:39], s[12:13] offset:24 th:TH_ATOMIC_RETURN scope:SCOPE_SYS
	s_wait_loadcnt 0x0
	global_inv scope:SCOPE_SYS
	s_wait_xcnt 0x0
	v_cmpx_ne_u64_e64 v[18:19], v[38:39]
	s_cbranch_execz .LBB4_86
; %bb.83:                               ;   in Loop: Header=BB4_32 Depth=2
	s_mov_b32 s21, 0
.LBB4_84:                               ;   Parent Loop BB4_3 Depth=1
                                        ;     Parent Loop BB4_32 Depth=2
                                        ; =>    This Inner Loop Header: Depth=3
	s_sleep 1
	s_clause 0x1
	global_load_b64 v[36:37], v1, s[12:13] offset:40
	global_load_b64 v[40:41], v1, s[12:13]
	v_mov_b64_e32 v[38:39], v[18:19]
	s_wait_loadcnt 0x1
	s_delay_alu instid0(VALU_DEP_1) | instskip(SKIP_1) | instid1(VALU_DEP_1)
	v_and_b32_e32 v0, v36, v38
	s_wait_loadcnt 0x0
	v_mad_nc_u64_u32 v[18:19], v0, 24, v[40:41]
	s_delay_alu instid0(VALU_DEP_3) | instskip(NEXT) | instid1(VALU_DEP_1)
	v_and_b32_e32 v0, v37, v39
	v_mad_u32 v19, v0, 24, v19
	global_load_b64 v[36:37], v[18:19], off scope:SCOPE_SYS
	s_wait_xcnt 0x0
	s_wait_loadcnt 0x0
	global_atomic_cmpswap_b64 v[18:19], v1, v[36:39], s[12:13] offset:24 th:TH_ATOMIC_RETURN scope:SCOPE_SYS
	s_wait_loadcnt 0x0
	global_inv scope:SCOPE_SYS
	v_cmp_eq_u64_e32 vcc_lo, v[18:19], v[38:39]
	s_or_b32 s21, vcc_lo, s21
	s_wait_xcnt 0x0
	s_and_not1_b32 exec_lo, exec_lo, s21
	s_cbranch_execnz .LBB4_84
; %bb.85:                               ;   in Loop: Header=BB4_32 Depth=2
	s_or_b32 exec_lo, exec_lo, s21
.LBB4_86:                               ;   in Loop: Header=BB4_32 Depth=2
	s_delay_alu instid0(SALU_CYCLE_1)
	s_or_b32 exec_lo, exec_lo, s20
.LBB4_87:                               ;   in Loop: Header=BB4_32 Depth=2
	s_delay_alu instid0(SALU_CYCLE_1)
	s_or_b32 exec_lo, exec_lo, s3
	s_clause 0x1
	global_load_b64 v[40:41], v1, s[12:13] offset:40
	global_load_b128 v[36:39], v1, s[12:13]
	v_readfirstlane_b32 s20, v18
	v_readfirstlane_b32 s21, v19
	s_mov_b32 s3, exec_lo
	s_wait_loadcnt 0x1
	v_and_b32_e32 v18, s20, v40
	v_and_b32_e32 v19, s21, v41
	s_delay_alu instid0(VALU_DEP_1) | instskip(SKIP_1) | instid1(VALU_DEP_1)
	v_mul_u64_e32 v[40:41], 24, v[18:19]
	s_wait_loadcnt 0x0
	v_add_nc_u64_e32 v[40:41], v[36:37], v[40:41]
	s_wait_xcnt 0x0
	s_and_saveexec_b32 s22, s2
	s_cbranch_execz .LBB4_89
; %bb.88:                               ;   in Loop: Header=BB4_32 Depth=2
	v_mov_b32_e32 v0, s3
	global_store_b128 v[40:41], v[0:3], off offset:8
.LBB4_89:                               ;   in Loop: Header=BB4_32 Depth=2
	s_wait_xcnt 0x0
	s_or_b32 exec_lo, exec_lo, s22
	v_cmp_lt_u64_e64 vcc_lo, s[14:15], 57
	v_lshlrev_b64_e32 v[18:19], 12, v[18:19]
	v_and_b32_e32 v5, 0xffffff1f, v20
	s_lshl_b32 s3, s18, 2
	s_delay_alu instid0(SALU_CYCLE_1) | instskip(SKIP_1) | instid1(VALU_DEP_3)
	s_add_co_i32 s3, s3, 28
	v_cndmask_b32_e32 v0, 0, v6, vcc_lo
	v_add_nc_u64_e32 v[38:39], v[38:39], v[18:19]
	s_delay_alu instid0(VALU_DEP_2) | instskip(NEXT) | instid1(VALU_DEP_2)
	v_or_b32_e32 v0, v5, v0
	v_readfirstlane_b32 s22, v38
	s_delay_alu instid0(VALU_DEP_3) | instskip(NEXT) | instid1(VALU_DEP_3)
	v_readfirstlane_b32 s23, v39
	v_and_or_b32 v20, 0x1e0, s3, v0
	s_clause 0x3
	global_store_b128 v50, v[20:23], s[22:23]
	global_store_b128 v50, v[24:27], s[22:23] offset:16
	global_store_b128 v50, v[28:31], s[22:23] offset:32
	;; [unrolled: 1-line block ×3, first 2 shown]
	s_wait_xcnt 0x0
	s_and_saveexec_b32 s3, s2
	s_cbranch_execz .LBB4_97
; %bb.90:                               ;   in Loop: Header=BB4_32 Depth=2
	s_clause 0x1
	global_load_b64 v[26:27], v1, s[12:13] offset:32 scope:SCOPE_SYS
	global_load_b64 v[18:19], v1, s[12:13] offset:40
	s_mov_b32 s22, exec_lo
	v_dual_mov_b32 v24, s20 :: v_dual_mov_b32 v25, s21
	s_wait_loadcnt 0x0
	v_and_b32_e32 v19, s21, v19
	v_and_b32_e32 v18, s20, v18
	s_delay_alu instid0(VALU_DEP_1) | instskip(NEXT) | instid1(VALU_DEP_1)
	v_mul_u64_e32 v[18:19], 24, v[18:19]
	v_add_nc_u64_e32 v[22:23], v[36:37], v[18:19]
	global_store_b64 v[22:23], v[26:27], off
	global_wb scope:SCOPE_SYS
	s_wait_storecnt 0x0
	s_wait_xcnt 0x0
	global_atomic_cmpswap_b64 v[20:21], v1, v[24:27], s[12:13] offset:32 th:TH_ATOMIC_RETURN scope:SCOPE_SYS
	s_wait_loadcnt 0x0
	s_wait_xcnt 0x0
	v_cmpx_ne_u64_e64 v[20:21], v[26:27]
	s_cbranch_execz .LBB4_93
; %bb.91:                               ;   in Loop: Header=BB4_32 Depth=2
	s_mov_b32 s23, 0
.LBB4_92:                               ;   Parent Loop BB4_3 Depth=1
                                        ;     Parent Loop BB4_32 Depth=2
                                        ; =>    This Inner Loop Header: Depth=3
	v_dual_mov_b32 v18, s20 :: v_dual_mov_b32 v19, s21
	s_sleep 1
	global_store_b64 v[22:23], v[20:21], off
	global_wb scope:SCOPE_SYS
	s_wait_storecnt 0x0
	s_wait_xcnt 0x0
	global_atomic_cmpswap_b64 v[18:19], v1, v[18:21], s[12:13] offset:32 th:TH_ATOMIC_RETURN scope:SCOPE_SYS
	s_wait_loadcnt 0x0
	v_cmp_eq_u64_e32 vcc_lo, v[18:19], v[20:21]
	s_wait_xcnt 0x0
	v_mov_b64_e32 v[20:21], v[18:19]
	s_or_b32 s23, vcc_lo, s23
	s_delay_alu instid0(SALU_CYCLE_1)
	s_and_not1_b32 exec_lo, exec_lo, s23
	s_cbranch_execnz .LBB4_92
.LBB4_93:                               ;   in Loop: Header=BB4_32 Depth=2
	s_or_b32 exec_lo, exec_lo, s22
	global_load_b64 v[18:19], v1, s[12:13] offset:16
	s_mov_b32 s23, exec_lo
	s_mov_b32 s22, exec_lo
	v_mbcnt_lo_u32_b32 v0, s23, 0
	s_wait_xcnt 0x0
	s_delay_alu instid0(VALU_DEP_1)
	v_cmpx_eq_u32_e32 0, v0
	s_cbranch_execz .LBB4_95
; %bb.94:                               ;   in Loop: Header=BB4_32 Depth=2
	s_bcnt1_i32_b32 s23, s23
	s_delay_alu instid0(SALU_CYCLE_1)
	v_mov_b32_e32 v0, s23
	global_wb scope:SCOPE_SYS
	s_wait_loadcnt 0x0
	s_wait_storecnt 0x0
	global_atomic_add_u64 v[18:19], v[0:1], off offset:8 scope:SCOPE_SYS
.LBB4_95:                               ;   in Loop: Header=BB4_32 Depth=2
	s_wait_xcnt 0x0
	s_or_b32 exec_lo, exec_lo, s22
	s_wait_loadcnt 0x0
	global_load_b64 v[20:21], v[18:19], off offset:16
	s_wait_loadcnt 0x0
	v_cmp_eq_u64_e32 vcc_lo, 0, v[20:21]
	s_cbranch_vccnz .LBB4_97
; %bb.96:                               ;   in Loop: Header=BB4_32 Depth=2
	global_load_b32 v0, v[18:19], off offset:24
	s_wait_loadcnt 0x0
	v_readfirstlane_b32 s22, v0
	global_wb scope:SCOPE_SYS
	s_wait_storecnt 0x0
	s_wait_xcnt 0x0
	global_store_b64 v[20:21], v[0:1], off scope:SCOPE_SYS
	s_and_b32 m0, s22, 0xffffff
	s_sendmsg sendmsg(MSG_INTERRUPT)
.LBB4_97:                               ;   in Loop: Header=BB4_32 Depth=2
	s_wait_xcnt 0x0
	s_or_b32 exec_lo, exec_lo, s3
	v_mov_b32_e32 v51, v1
	s_delay_alu instid0(VALU_DEP_1)
	v_add_nc_u64_e32 v[18:19], v[38:39], v[50:51]
	s_branch .LBB4_101
.LBB4_98:                               ;   in Loop: Header=BB4_101 Depth=3
	s_wait_xcnt 0x0
	s_or_b32 exec_lo, exec_lo, s3
	s_delay_alu instid0(VALU_DEP_1)
	v_readfirstlane_b32 s3, v0
	s_cmp_eq_u32 s3, 0
	s_cbranch_scc1 .LBB4_100
; %bb.99:                               ;   in Loop: Header=BB4_101 Depth=3
	s_sleep 1
	s_cbranch_execnz .LBB4_101
	s_branch .LBB4_103
.LBB4_100:                              ;   in Loop: Header=BB4_32 Depth=2
	s_branch .LBB4_103
.LBB4_101:                              ;   Parent Loop BB4_3 Depth=1
                                        ;     Parent Loop BB4_32 Depth=2
                                        ; =>    This Inner Loop Header: Depth=3
	v_mov_b32_e32 v0, 1
	s_and_saveexec_b32 s3, s2
	s_cbranch_execz .LBB4_98
; %bb.102:                              ;   in Loop: Header=BB4_101 Depth=3
	global_load_b32 v0, v[40:41], off offset:20 scope:SCOPE_SYS
	s_wait_loadcnt 0x0
	global_inv scope:SCOPE_SYS
	v_and_b32_e32 v0, 1, v0
	s_branch .LBB4_98
.LBB4_103:                              ;   in Loop: Header=BB4_32 Depth=2
	global_load_b64 v[20:21], v[18:19], off
	s_wait_xcnt 0x0
	s_and_saveexec_b32 s22, s2
	s_cbranch_execz .LBB4_31
; %bb.104:                              ;   in Loop: Header=BB4_32 Depth=2
	s_clause 0x2
	global_load_b64 v[18:19], v1, s[12:13] offset:40
	global_load_b64 v[26:27], v1, s[12:13] offset:24 scope:SCOPE_SYS
	global_load_b64 v[22:23], v1, s[12:13]
	s_wait_loadcnt 0x2
	v_readfirstlane_b32 s28, v18
	v_readfirstlane_b32 s29, v19
	s_add_nc_u64 s[2:3], s[28:29], 1
	s_delay_alu instid0(SALU_CYCLE_1) | instskip(NEXT) | instid1(SALU_CYCLE_1)
	s_add_nc_u64 s[20:21], s[2:3], s[20:21]
	s_cmp_eq_u64 s[20:21], 0
	s_cselect_b32 s3, s3, s21
	s_cselect_b32 s2, s2, s20
	s_delay_alu instid0(SALU_CYCLE_1) | instskip(SKIP_1) | instid1(SALU_CYCLE_1)
	v_dual_mov_b32 v25, s3 :: v_dual_mov_b32 v24, s2
	s_and_b64 s[20:21], s[2:3], s[28:29]
	s_mul_u64 s[20:21], s[20:21], 24
	s_wait_loadcnt 0x0
	v_add_nc_u64_e32 v[18:19], s[20:21], v[22:23]
	global_store_b64 v[18:19], v[26:27], off
	global_wb scope:SCOPE_SYS
	s_wait_storecnt 0x0
	s_wait_xcnt 0x0
	global_atomic_cmpswap_b64 v[24:25], v1, v[24:27], s[12:13] offset:24 th:TH_ATOMIC_RETURN scope:SCOPE_SYS
	s_wait_loadcnt 0x0
	v_cmp_ne_u64_e32 vcc_lo, v[24:25], v[26:27]
	s_wait_xcnt 0x0
	s_and_b32 exec_lo, exec_lo, vcc_lo
	s_cbranch_execz .LBB4_31
; %bb.105:                              ;   in Loop: Header=BB4_32 Depth=2
	s_mov_b32 s20, 0
.LBB4_106:                              ;   Parent Loop BB4_3 Depth=1
                                        ;     Parent Loop BB4_32 Depth=2
                                        ; =>    This Inner Loop Header: Depth=3
	v_dual_mov_b32 v22, s2 :: v_dual_mov_b32 v23, s3
	s_sleep 1
	global_store_b64 v[18:19], v[24:25], off
	global_wb scope:SCOPE_SYS
	s_wait_storecnt 0x0
	s_wait_xcnt 0x0
	global_atomic_cmpswap_b64 v[22:23], v1, v[22:25], s[12:13] offset:24 th:TH_ATOMIC_RETURN scope:SCOPE_SYS
	s_wait_loadcnt 0x0
	v_cmp_eq_u64_e32 vcc_lo, v[22:23], v[24:25]
	s_wait_xcnt 0x0
	v_mov_b64_e32 v[24:25], v[22:23]
	s_or_b32 s20, vcc_lo, s20
	s_delay_alu instid0(SALU_CYCLE_1)
	s_and_not1_b32 exec_lo, exec_lo, s20
	s_cbranch_execnz .LBB4_106
	s_branch .LBB4_31
.LBB4_107:                              ;   in Loop: Header=BB4_3 Depth=1
.LBB4_108:                              ;   in Loop: Header=BB4_3 Depth=1
	s_and_b32 vcc_lo, exec_lo, s26
	s_cbranch_vccz .LBB4_215
.LBB4_109:                              ;   in Loop: Header=BB4_3 Depth=1
	s_wait_loadcnt 0x0
	v_dual_mov_b32 v17, v21 :: v_dual_bitop2_b32 v6, 2, v20 bitop3:0x40
	v_and_b32_e32 v16, -3, v20
	s_mov_b64 s[16:17], 45
	s_get_pc_i64 s[14:15]
	s_add_nc_u64 s[14:15], s[14:15], .str.6@rel64+4
	s_branch .LBB4_111
.LBB4_110:                              ;   in Loop: Header=BB4_111 Depth=2
	s_or_b32 exec_lo, exec_lo, s22
	s_sub_nc_u64 s[16:17], s[16:17], s[18:19]
	s_add_nc_u64 s[14:15], s[14:15], s[18:19]
	s_cmp_lg_u64 s[16:17], 0
	s_cbranch_scc0 .LBB4_186
.LBB4_111:                              ;   Parent Loop BB4_3 Depth=1
                                        ; =>  This Loop Header: Depth=2
                                        ;       Child Loop BB4_114 Depth 3
                                        ;       Child Loop BB4_121 Depth 3
	;; [unrolled: 1-line block ×11, first 2 shown]
	v_min_u64 v[18:19], s[16:17], 56
	v_cmp_gt_u64_e64 s2, s[16:17], 7
	s_and_b32 vcc_lo, exec_lo, s2
	v_readfirstlane_b32 s18, v18
	v_readfirstlane_b32 s19, v19
	s_cbranch_vccnz .LBB4_116
; %bb.112:                              ;   in Loop: Header=BB4_111 Depth=2
	v_mov_b64_e32 v[18:19], 0
	s_cmp_eq_u64 s[16:17], 0
	s_cbranch_scc1 .LBB4_115
; %bb.113:                              ;   in Loop: Header=BB4_111 Depth=2
	s_mov_b64 s[2:3], 0
	s_mov_b64 s[20:21], 0
.LBB4_114:                              ;   Parent Loop BB4_3 Depth=1
                                        ;     Parent Loop BB4_111 Depth=2
                                        ; =>    This Inner Loop Header: Depth=3
	s_wait_xcnt 0x0
	s_add_nc_u64 s[22:23], s[14:15], s[20:21]
	s_add_nc_u64 s[20:21], s[20:21], 1
	global_load_u8 v0, v1, s[22:23]
	s_cmp_lg_u32 s18, s20
	s_wait_loadcnt 0x0
	v_and_b32_e32 v0, 0xffff, v0
	s_delay_alu instid0(VALU_DEP_1) | instskip(SKIP_1) | instid1(VALU_DEP_1)
	v_lshlrev_b64_e32 v[22:23], s2, v[0:1]
	s_add_nc_u64 s[2:3], s[2:3], 8
	v_or_b32_e32 v18, v22, v18
	s_delay_alu instid0(VALU_DEP_2)
	v_or_b32_e32 v19, v23, v19
	s_cbranch_scc1 .LBB4_114
.LBB4_115:                              ;   in Loop: Header=BB4_111 Depth=2
	s_mov_b64 s[2:3], s[14:15]
	s_mov_b32 s28, 0
	s_cbranch_execz .LBB4_117
	s_branch .LBB4_118
.LBB4_116:                              ;   in Loop: Header=BB4_111 Depth=2
	s_add_nc_u64 s[2:3], s[14:15], 8
	s_mov_b32 s28, 0
.LBB4_117:                              ;   in Loop: Header=BB4_111 Depth=2
	global_load_b64 v[18:19], v1, s[14:15]
	s_add_co_i32 s28, s18, -8
.LBB4_118:                              ;   in Loop: Header=BB4_111 Depth=2
	s_delay_alu instid0(SALU_CYCLE_1)
	s_cmp_gt_u32 s28, 7
	s_cbranch_scc1 .LBB4_123
; %bb.119:                              ;   in Loop: Header=BB4_111 Depth=2
	v_mov_b64_e32 v[22:23], 0
	s_cmp_eq_u32 s28, 0
	s_cbranch_scc1 .LBB4_122
; %bb.120:                              ;   in Loop: Header=BB4_111 Depth=2
	s_mov_b64 s[20:21], 0
	s_wait_xcnt 0x0
	s_mov_b64 s[22:23], 0
.LBB4_121:                              ;   Parent Loop BB4_3 Depth=1
                                        ;     Parent Loop BB4_111 Depth=2
                                        ; =>    This Inner Loop Header: Depth=3
	s_wait_xcnt 0x0
	s_add_nc_u64 s[30:31], s[2:3], s[22:23]
	s_add_nc_u64 s[22:23], s[22:23], 1
	global_load_u8 v0, v1, s[30:31]
	s_cmp_lg_u32 s28, s22
	s_wait_loadcnt 0x0
	v_and_b32_e32 v0, 0xffff, v0
	s_delay_alu instid0(VALU_DEP_1) | instskip(SKIP_1) | instid1(VALU_DEP_1)
	v_lshlrev_b64_e32 v[24:25], s20, v[0:1]
	s_add_nc_u64 s[20:21], s[20:21], 8
	v_or_b32_e32 v22, v24, v22
	s_delay_alu instid0(VALU_DEP_2)
	v_or_b32_e32 v23, v25, v23
	s_cbranch_scc1 .LBB4_121
.LBB4_122:                              ;   in Loop: Header=BB4_111 Depth=2
	s_wait_xcnt 0x0
	s_mov_b64 s[20:21], s[2:3]
	s_mov_b32 s29, 0
	s_cbranch_execz .LBB4_124
	s_branch .LBB4_125
.LBB4_123:                              ;   in Loop: Header=BB4_111 Depth=2
	s_add_nc_u64 s[20:21], s[2:3], 8
	s_wait_xcnt 0x0
                                        ; implicit-def: $vgpr22_vgpr23
	s_mov_b32 s29, 0
.LBB4_124:                              ;   in Loop: Header=BB4_111 Depth=2
	global_load_b64 v[22:23], v1, s[2:3]
	s_add_co_i32 s29, s28, -8
.LBB4_125:                              ;   in Loop: Header=BB4_111 Depth=2
	s_delay_alu instid0(SALU_CYCLE_1)
	s_cmp_gt_u32 s29, 7
	s_cbranch_scc1 .LBB4_130
; %bb.126:                              ;   in Loop: Header=BB4_111 Depth=2
	v_mov_b64_e32 v[24:25], 0
	s_cmp_eq_u32 s29, 0
	s_cbranch_scc1 .LBB4_129
; %bb.127:                              ;   in Loop: Header=BB4_111 Depth=2
	s_wait_xcnt 0x0
	s_mov_b64 s[2:3], 0
	s_mov_b64 s[22:23], 0
.LBB4_128:                              ;   Parent Loop BB4_3 Depth=1
                                        ;     Parent Loop BB4_111 Depth=2
                                        ; =>    This Inner Loop Header: Depth=3
	s_wait_xcnt 0x0
	s_add_nc_u64 s[30:31], s[20:21], s[22:23]
	s_add_nc_u64 s[22:23], s[22:23], 1
	global_load_u8 v0, v1, s[30:31]
	s_cmp_lg_u32 s29, s22
	s_wait_loadcnt 0x0
	v_and_b32_e32 v0, 0xffff, v0
	s_delay_alu instid0(VALU_DEP_1) | instskip(SKIP_1) | instid1(VALU_DEP_1)
	v_lshlrev_b64_e32 v[26:27], s2, v[0:1]
	s_add_nc_u64 s[2:3], s[2:3], 8
	v_or_b32_e32 v24, v26, v24
	s_delay_alu instid0(VALU_DEP_2)
	v_or_b32_e32 v25, v27, v25
	s_cbranch_scc1 .LBB4_128
.LBB4_129:                              ;   in Loop: Header=BB4_111 Depth=2
	s_wait_xcnt 0x0
	s_mov_b64 s[2:3], s[20:21]
	s_mov_b32 s28, 0
	s_cbranch_execz .LBB4_131
	s_branch .LBB4_132
.LBB4_130:                              ;   in Loop: Header=BB4_111 Depth=2
	s_wait_xcnt 0x0
	s_add_nc_u64 s[2:3], s[20:21], 8
	s_mov_b32 s28, 0
.LBB4_131:                              ;   in Loop: Header=BB4_111 Depth=2
	global_load_b64 v[24:25], v1, s[20:21]
	s_add_co_i32 s28, s29, -8
.LBB4_132:                              ;   in Loop: Header=BB4_111 Depth=2
	s_delay_alu instid0(SALU_CYCLE_1)
	s_cmp_gt_u32 s28, 7
	s_cbranch_scc1 .LBB4_137
; %bb.133:                              ;   in Loop: Header=BB4_111 Depth=2
	v_mov_b64_e32 v[26:27], 0
	s_cmp_eq_u32 s28, 0
	s_cbranch_scc1 .LBB4_136
; %bb.134:                              ;   in Loop: Header=BB4_111 Depth=2
	s_wait_xcnt 0x0
	s_mov_b64 s[20:21], 0
	s_mov_b64 s[22:23], 0
.LBB4_135:                              ;   Parent Loop BB4_3 Depth=1
                                        ;     Parent Loop BB4_111 Depth=2
                                        ; =>    This Inner Loop Header: Depth=3
	s_wait_xcnt 0x0
	s_add_nc_u64 s[30:31], s[2:3], s[22:23]
	s_add_nc_u64 s[22:23], s[22:23], 1
	global_load_u8 v0, v1, s[30:31]
	s_cmp_lg_u32 s28, s22
	s_wait_loadcnt 0x0
	v_and_b32_e32 v0, 0xffff, v0
	s_delay_alu instid0(VALU_DEP_1) | instskip(SKIP_1) | instid1(VALU_DEP_1)
	v_lshlrev_b64_e32 v[28:29], s20, v[0:1]
	s_add_nc_u64 s[20:21], s[20:21], 8
	v_or_b32_e32 v26, v28, v26
	s_delay_alu instid0(VALU_DEP_2)
	v_or_b32_e32 v27, v29, v27
	s_cbranch_scc1 .LBB4_135
.LBB4_136:                              ;   in Loop: Header=BB4_111 Depth=2
	s_wait_xcnt 0x0
	s_mov_b64 s[20:21], s[2:3]
	s_mov_b32 s29, 0
	s_cbranch_execz .LBB4_138
	s_branch .LBB4_139
.LBB4_137:                              ;   in Loop: Header=BB4_111 Depth=2
	s_wait_xcnt 0x0
	s_add_nc_u64 s[20:21], s[2:3], 8
                                        ; implicit-def: $vgpr26_vgpr27
	s_mov_b32 s29, 0
.LBB4_138:                              ;   in Loop: Header=BB4_111 Depth=2
	global_load_b64 v[26:27], v1, s[2:3]
	s_add_co_i32 s29, s28, -8
.LBB4_139:                              ;   in Loop: Header=BB4_111 Depth=2
	s_delay_alu instid0(SALU_CYCLE_1)
	s_cmp_gt_u32 s29, 7
	s_cbranch_scc1 .LBB4_144
; %bb.140:                              ;   in Loop: Header=BB4_111 Depth=2
	v_mov_b64_e32 v[28:29], 0
	s_cmp_eq_u32 s29, 0
	s_cbranch_scc1 .LBB4_143
; %bb.141:                              ;   in Loop: Header=BB4_111 Depth=2
	s_wait_xcnt 0x0
	s_mov_b64 s[2:3], 0
	s_mov_b64 s[22:23], 0
.LBB4_142:                              ;   Parent Loop BB4_3 Depth=1
                                        ;     Parent Loop BB4_111 Depth=2
                                        ; =>    This Inner Loop Header: Depth=3
	s_wait_xcnt 0x0
	s_add_nc_u64 s[30:31], s[20:21], s[22:23]
	s_add_nc_u64 s[22:23], s[22:23], 1
	global_load_u8 v0, v1, s[30:31]
	s_cmp_lg_u32 s29, s22
	s_wait_loadcnt 0x0
	v_and_b32_e32 v0, 0xffff, v0
	s_delay_alu instid0(VALU_DEP_1) | instskip(SKIP_1) | instid1(VALU_DEP_1)
	v_lshlrev_b64_e32 v[30:31], s2, v[0:1]
	s_add_nc_u64 s[2:3], s[2:3], 8
	v_or_b32_e32 v28, v30, v28
	s_delay_alu instid0(VALU_DEP_2)
	v_or_b32_e32 v29, v31, v29
	s_cbranch_scc1 .LBB4_142
.LBB4_143:                              ;   in Loop: Header=BB4_111 Depth=2
	s_wait_xcnt 0x0
	s_mov_b64 s[2:3], s[20:21]
	s_mov_b32 s28, 0
	s_cbranch_execz .LBB4_145
	s_branch .LBB4_146
.LBB4_144:                              ;   in Loop: Header=BB4_111 Depth=2
	s_wait_xcnt 0x0
	s_add_nc_u64 s[2:3], s[20:21], 8
	s_mov_b32 s28, 0
.LBB4_145:                              ;   in Loop: Header=BB4_111 Depth=2
	global_load_b64 v[28:29], v1, s[20:21]
	s_add_co_i32 s28, s29, -8
.LBB4_146:                              ;   in Loop: Header=BB4_111 Depth=2
	s_delay_alu instid0(SALU_CYCLE_1)
	s_cmp_gt_u32 s28, 7
	s_cbranch_scc1 .LBB4_151
; %bb.147:                              ;   in Loop: Header=BB4_111 Depth=2
	v_mov_b64_e32 v[30:31], 0
	s_cmp_eq_u32 s28, 0
	s_cbranch_scc1 .LBB4_150
; %bb.148:                              ;   in Loop: Header=BB4_111 Depth=2
	s_wait_xcnt 0x0
	s_mov_b64 s[20:21], 0
	s_mov_b64 s[22:23], 0
.LBB4_149:                              ;   Parent Loop BB4_3 Depth=1
                                        ;     Parent Loop BB4_111 Depth=2
                                        ; =>    This Inner Loop Header: Depth=3
	s_wait_xcnt 0x0
	s_add_nc_u64 s[30:31], s[2:3], s[22:23]
	s_add_nc_u64 s[22:23], s[22:23], 1
	global_load_u8 v0, v1, s[30:31]
	s_cmp_lg_u32 s28, s22
	s_wait_loadcnt 0x0
	v_and_b32_e32 v0, 0xffff, v0
	s_delay_alu instid0(VALU_DEP_1) | instskip(SKIP_1) | instid1(VALU_DEP_1)
	v_lshlrev_b64_e32 v[32:33], s20, v[0:1]
	s_add_nc_u64 s[20:21], s[20:21], 8
	v_or_b32_e32 v30, v32, v30
	s_delay_alu instid0(VALU_DEP_2)
	v_or_b32_e32 v31, v33, v31
	s_cbranch_scc1 .LBB4_149
.LBB4_150:                              ;   in Loop: Header=BB4_111 Depth=2
	s_wait_xcnt 0x0
	s_mov_b64 s[20:21], s[2:3]
	s_mov_b32 s29, 0
	s_cbranch_execz .LBB4_152
	s_branch .LBB4_153
.LBB4_151:                              ;   in Loop: Header=BB4_111 Depth=2
	s_wait_xcnt 0x0
	s_add_nc_u64 s[20:21], s[2:3], 8
                                        ; implicit-def: $vgpr30_vgpr31
	s_mov_b32 s29, 0
.LBB4_152:                              ;   in Loop: Header=BB4_111 Depth=2
	global_load_b64 v[30:31], v1, s[2:3]
	s_add_co_i32 s29, s28, -8
.LBB4_153:                              ;   in Loop: Header=BB4_111 Depth=2
	s_delay_alu instid0(SALU_CYCLE_1)
	s_cmp_gt_u32 s29, 7
	s_cbranch_scc1 .LBB4_158
; %bb.154:                              ;   in Loop: Header=BB4_111 Depth=2
	v_mov_b64_e32 v[32:33], 0
	s_cmp_eq_u32 s29, 0
	s_cbranch_scc1 .LBB4_157
; %bb.155:                              ;   in Loop: Header=BB4_111 Depth=2
	s_wait_xcnt 0x0
	s_mov_b64 s[2:3], 0
	s_mov_b64 s[22:23], s[20:21]
.LBB4_156:                              ;   Parent Loop BB4_3 Depth=1
                                        ;     Parent Loop BB4_111 Depth=2
                                        ; =>    This Inner Loop Header: Depth=3
	global_load_u8 v0, v1, s[22:23]
	s_add_co_i32 s29, s29, -1
	s_wait_xcnt 0x0
	s_add_nc_u64 s[22:23], s[22:23], 1
	s_cmp_lg_u32 s29, 0
	s_wait_loadcnt 0x0
	v_and_b32_e32 v0, 0xffff, v0
	s_delay_alu instid0(VALU_DEP_1) | instskip(SKIP_1) | instid1(VALU_DEP_1)
	v_lshlrev_b64_e32 v[34:35], s2, v[0:1]
	s_add_nc_u64 s[2:3], s[2:3], 8
	v_or_b32_e32 v32, v34, v32
	s_delay_alu instid0(VALU_DEP_2)
	v_or_b32_e32 v33, v35, v33
	s_cbranch_scc1 .LBB4_156
.LBB4_157:                              ;   in Loop: Header=BB4_111 Depth=2
	s_wait_xcnt 0x0
	s_cbranch_execz .LBB4_159
	s_branch .LBB4_160
.LBB4_158:                              ;   in Loop: Header=BB4_111 Depth=2
	s_wait_xcnt 0x0
.LBB4_159:                              ;   in Loop: Header=BB4_111 Depth=2
	global_load_b64 v[32:33], v1, s[20:21]
.LBB4_160:                              ;   in Loop: Header=BB4_111 Depth=2
	v_readfirstlane_b32 s2, v46
	v_mov_b64_e32 v[38:39], 0
	s_delay_alu instid0(VALU_DEP_2)
	v_cmp_eq_u32_e64 s2, s2, v46
	s_wait_xcnt 0x0
	s_and_saveexec_b32 s3, s2
	s_cbranch_execz .LBB4_166
; %bb.161:                              ;   in Loop: Header=BB4_111 Depth=2
	global_load_b64 v[36:37], v1, s[12:13] offset:24 scope:SCOPE_SYS
	s_wait_loadcnt 0x0
	global_inv scope:SCOPE_SYS
	s_clause 0x1
	global_load_b64 v[34:35], v1, s[12:13] offset:40
	global_load_b64 v[38:39], v1, s[12:13]
	s_mov_b32 s20, exec_lo
	s_wait_loadcnt 0x1
	v_and_b32_e32 v34, v34, v36
	v_and_b32_e32 v35, v35, v37
	s_delay_alu instid0(VALU_DEP_1) | instskip(SKIP_1) | instid1(VALU_DEP_1)
	v_mul_u64_e32 v[34:35], 24, v[34:35]
	s_wait_loadcnt 0x0
	v_add_nc_u64_e32 v[34:35], v[38:39], v[34:35]
	global_load_b64 v[34:35], v[34:35], off scope:SCOPE_SYS
	s_wait_xcnt 0x0
	s_wait_loadcnt 0x0
	global_atomic_cmpswap_b64 v[38:39], v1, v[34:37], s[12:13] offset:24 th:TH_ATOMIC_RETURN scope:SCOPE_SYS
	s_wait_loadcnt 0x0
	global_inv scope:SCOPE_SYS
	s_wait_xcnt 0x0
	v_cmpx_ne_u64_e64 v[38:39], v[36:37]
	s_cbranch_execz .LBB4_165
; %bb.162:                              ;   in Loop: Header=BB4_111 Depth=2
	s_mov_b32 s21, 0
.LBB4_163:                              ;   Parent Loop BB4_3 Depth=1
                                        ;     Parent Loop BB4_111 Depth=2
                                        ; =>    This Inner Loop Header: Depth=3
	s_sleep 1
	s_clause 0x1
	global_load_b64 v[34:35], v1, s[12:13] offset:40
	global_load_b64 v[40:41], v1, s[12:13]
	v_mov_b64_e32 v[36:37], v[38:39]
	s_wait_loadcnt 0x1
	s_delay_alu instid0(VALU_DEP_1) | instskip(SKIP_1) | instid1(VALU_DEP_1)
	v_and_b32_e32 v0, v34, v36
	s_wait_loadcnt 0x0
	v_mad_nc_u64_u32 v[38:39], v0, 24, v[40:41]
	s_delay_alu instid0(VALU_DEP_3) | instskip(NEXT) | instid1(VALU_DEP_1)
	v_and_b32_e32 v0, v35, v37
	v_mad_u32 v39, v0, 24, v39
	global_load_b64 v[34:35], v[38:39], off scope:SCOPE_SYS
	s_wait_xcnt 0x0
	s_wait_loadcnt 0x0
	global_atomic_cmpswap_b64 v[38:39], v1, v[34:37], s[12:13] offset:24 th:TH_ATOMIC_RETURN scope:SCOPE_SYS
	s_wait_loadcnt 0x0
	global_inv scope:SCOPE_SYS
	v_cmp_eq_u64_e32 vcc_lo, v[38:39], v[36:37]
	s_or_b32 s21, vcc_lo, s21
	s_wait_xcnt 0x0
	s_and_not1_b32 exec_lo, exec_lo, s21
	s_cbranch_execnz .LBB4_163
; %bb.164:                              ;   in Loop: Header=BB4_111 Depth=2
	s_or_b32 exec_lo, exec_lo, s21
.LBB4_165:                              ;   in Loop: Header=BB4_111 Depth=2
	s_delay_alu instid0(SALU_CYCLE_1)
	s_or_b32 exec_lo, exec_lo, s20
.LBB4_166:                              ;   in Loop: Header=BB4_111 Depth=2
	s_delay_alu instid0(SALU_CYCLE_1)
	s_or_b32 exec_lo, exec_lo, s3
	s_clause 0x1
	global_load_b64 v[40:41], v1, s[12:13] offset:40
	global_load_b128 v[34:37], v1, s[12:13]
	v_readfirstlane_b32 s20, v38
	v_readfirstlane_b32 s21, v39
	s_mov_b32 s3, exec_lo
	s_wait_loadcnt 0x1
	v_and_b32_e32 v40, s20, v40
	v_and_b32_e32 v41, s21, v41
	s_delay_alu instid0(VALU_DEP_1) | instskip(SKIP_1) | instid1(VALU_DEP_1)
	v_mul_u64_e32 v[38:39], 24, v[40:41]
	s_wait_loadcnt 0x0
	v_add_nc_u64_e32 v[38:39], v[34:35], v[38:39]
	s_wait_xcnt 0x0
	s_and_saveexec_b32 s22, s2
	s_cbranch_execz .LBB4_168
; %bb.167:                              ;   in Loop: Header=BB4_111 Depth=2
	v_mov_b32_e32 v0, s3
	global_store_b128 v[38:39], v[0:3], off offset:8
.LBB4_168:                              ;   in Loop: Header=BB4_111 Depth=2
	s_wait_xcnt 0x0
	s_or_b32 exec_lo, exec_lo, s22
	v_cmp_lt_u64_e64 vcc_lo, s[16:17], 57
	v_lshlrev_b64_e32 v[40:41], 12, v[40:41]
	v_and_b32_e32 v5, 0xffffff1f, v16
	s_lshl_b32 s3, s18, 2
	s_delay_alu instid0(SALU_CYCLE_1) | instskip(SKIP_1) | instid1(VALU_DEP_3)
	s_add_co_i32 s3, s3, 28
	v_cndmask_b32_e32 v0, 0, v6, vcc_lo
	v_add_nc_u64_e32 v[36:37], v[36:37], v[40:41]
	s_delay_alu instid0(VALU_DEP_2) | instskip(NEXT) | instid1(VALU_DEP_2)
	v_or_b32_e32 v0, v5, v0
	v_readfirstlane_b32 s22, v36
	s_delay_alu instid0(VALU_DEP_3) | instskip(NEXT) | instid1(VALU_DEP_3)
	v_readfirstlane_b32 s23, v37
	v_and_or_b32 v16, 0x1e0, s3, v0
	s_clause 0x3
	global_store_b128 v50, v[16:19], s[22:23]
	global_store_b128 v50, v[22:25], s[22:23] offset:16
	global_store_b128 v50, v[26:29], s[22:23] offset:32
	;; [unrolled: 1-line block ×3, first 2 shown]
	s_wait_xcnt 0x0
	s_and_saveexec_b32 s3, s2
	s_cbranch_execz .LBB4_176
; %bb.169:                              ;   in Loop: Header=BB4_111 Depth=2
	s_clause 0x1
	global_load_b64 v[26:27], v1, s[12:13] offset:32 scope:SCOPE_SYS
	global_load_b64 v[16:17], v1, s[12:13] offset:40
	s_mov_b32 s22, exec_lo
	v_dual_mov_b32 v24, s20 :: v_dual_mov_b32 v25, s21
	s_wait_loadcnt 0x0
	v_and_b32_e32 v17, s21, v17
	v_and_b32_e32 v16, s20, v16
	s_delay_alu instid0(VALU_DEP_1) | instskip(NEXT) | instid1(VALU_DEP_1)
	v_mul_u64_e32 v[16:17], 24, v[16:17]
	v_add_nc_u64_e32 v[22:23], v[34:35], v[16:17]
	global_store_b64 v[22:23], v[26:27], off
	global_wb scope:SCOPE_SYS
	s_wait_storecnt 0x0
	s_wait_xcnt 0x0
	global_atomic_cmpswap_b64 v[18:19], v1, v[24:27], s[12:13] offset:32 th:TH_ATOMIC_RETURN scope:SCOPE_SYS
	s_wait_loadcnt 0x0
	s_wait_xcnt 0x0
	v_cmpx_ne_u64_e64 v[18:19], v[26:27]
	s_cbranch_execz .LBB4_172
; %bb.170:                              ;   in Loop: Header=BB4_111 Depth=2
	s_mov_b32 s23, 0
.LBB4_171:                              ;   Parent Loop BB4_3 Depth=1
                                        ;     Parent Loop BB4_111 Depth=2
                                        ; =>    This Inner Loop Header: Depth=3
	v_dual_mov_b32 v16, s20 :: v_dual_mov_b32 v17, s21
	s_sleep 1
	global_store_b64 v[22:23], v[18:19], off
	global_wb scope:SCOPE_SYS
	s_wait_storecnt 0x0
	s_wait_xcnt 0x0
	global_atomic_cmpswap_b64 v[16:17], v1, v[16:19], s[12:13] offset:32 th:TH_ATOMIC_RETURN scope:SCOPE_SYS
	s_wait_loadcnt 0x0
	v_cmp_eq_u64_e32 vcc_lo, v[16:17], v[18:19]
	s_wait_xcnt 0x0
	v_mov_b64_e32 v[18:19], v[16:17]
	s_or_b32 s23, vcc_lo, s23
	s_delay_alu instid0(SALU_CYCLE_1)
	s_and_not1_b32 exec_lo, exec_lo, s23
	s_cbranch_execnz .LBB4_171
.LBB4_172:                              ;   in Loop: Header=BB4_111 Depth=2
	s_or_b32 exec_lo, exec_lo, s22
	global_load_b64 v[16:17], v1, s[12:13] offset:16
	s_mov_b32 s23, exec_lo
	s_mov_b32 s22, exec_lo
	v_mbcnt_lo_u32_b32 v0, s23, 0
	s_wait_xcnt 0x0
	s_delay_alu instid0(VALU_DEP_1)
	v_cmpx_eq_u32_e32 0, v0
	s_cbranch_execz .LBB4_174
; %bb.173:                              ;   in Loop: Header=BB4_111 Depth=2
	s_bcnt1_i32_b32 s23, s23
	s_delay_alu instid0(SALU_CYCLE_1)
	v_mov_b32_e32 v0, s23
	global_wb scope:SCOPE_SYS
	s_wait_loadcnt 0x0
	s_wait_storecnt 0x0
	global_atomic_add_u64 v[16:17], v[0:1], off offset:8 scope:SCOPE_SYS
.LBB4_174:                              ;   in Loop: Header=BB4_111 Depth=2
	s_wait_xcnt 0x0
	s_or_b32 exec_lo, exec_lo, s22
	s_wait_loadcnt 0x0
	global_load_b64 v[18:19], v[16:17], off offset:16
	s_wait_loadcnt 0x0
	v_cmp_eq_u64_e32 vcc_lo, 0, v[18:19]
	s_cbranch_vccnz .LBB4_176
; %bb.175:                              ;   in Loop: Header=BB4_111 Depth=2
	global_load_b32 v0, v[16:17], off offset:24
	s_wait_loadcnt 0x0
	v_readfirstlane_b32 s22, v0
	global_wb scope:SCOPE_SYS
	s_wait_storecnt 0x0
	s_wait_xcnt 0x0
	global_store_b64 v[18:19], v[0:1], off scope:SCOPE_SYS
	s_and_b32 m0, s22, 0xffffff
	s_sendmsg sendmsg(MSG_INTERRUPT)
.LBB4_176:                              ;   in Loop: Header=BB4_111 Depth=2
	s_wait_xcnt 0x0
	s_or_b32 exec_lo, exec_lo, s3
	v_mov_b32_e32 v51, v1
	s_delay_alu instid0(VALU_DEP_1)
	v_add_nc_u64_e32 v[16:17], v[36:37], v[50:51]
	s_branch .LBB4_180
.LBB4_177:                              ;   in Loop: Header=BB4_180 Depth=3
	s_wait_xcnt 0x0
	s_or_b32 exec_lo, exec_lo, s3
	s_delay_alu instid0(VALU_DEP_1)
	v_readfirstlane_b32 s3, v0
	s_cmp_eq_u32 s3, 0
	s_cbranch_scc1 .LBB4_179
; %bb.178:                              ;   in Loop: Header=BB4_180 Depth=3
	s_sleep 1
	s_cbranch_execnz .LBB4_180
	s_branch .LBB4_182
.LBB4_179:                              ;   in Loop: Header=BB4_111 Depth=2
	s_branch .LBB4_182
.LBB4_180:                              ;   Parent Loop BB4_3 Depth=1
                                        ;     Parent Loop BB4_111 Depth=2
                                        ; =>    This Inner Loop Header: Depth=3
	v_mov_b32_e32 v0, 1
	s_and_saveexec_b32 s3, s2
	s_cbranch_execz .LBB4_177
; %bb.181:                              ;   in Loop: Header=BB4_180 Depth=3
	global_load_b32 v0, v[38:39], off offset:20 scope:SCOPE_SYS
	s_wait_loadcnt 0x0
	global_inv scope:SCOPE_SYS
	v_and_b32_e32 v0, 1, v0
	s_branch .LBB4_177
.LBB4_182:                              ;   in Loop: Header=BB4_111 Depth=2
	global_load_b64 v[16:17], v[16:17], off
	s_wait_xcnt 0x0
	s_and_saveexec_b32 s22, s2
	s_cbranch_execz .LBB4_110
; %bb.183:                              ;   in Loop: Header=BB4_111 Depth=2
	s_clause 0x2
	global_load_b64 v[18:19], v1, s[12:13] offset:40
	global_load_b64 v[26:27], v1, s[12:13] offset:24 scope:SCOPE_SYS
	global_load_b64 v[22:23], v1, s[12:13]
	s_wait_loadcnt 0x2
	v_readfirstlane_b32 s28, v18
	v_readfirstlane_b32 s29, v19
	s_add_nc_u64 s[2:3], s[28:29], 1
	s_delay_alu instid0(SALU_CYCLE_1) | instskip(NEXT) | instid1(SALU_CYCLE_1)
	s_add_nc_u64 s[20:21], s[2:3], s[20:21]
	s_cmp_eq_u64 s[20:21], 0
	s_cselect_b32 s3, s3, s21
	s_cselect_b32 s2, s2, s20
	s_delay_alu instid0(SALU_CYCLE_1) | instskip(SKIP_1) | instid1(SALU_CYCLE_1)
	v_dual_mov_b32 v25, s3 :: v_dual_mov_b32 v24, s2
	s_and_b64 s[20:21], s[2:3], s[28:29]
	s_mul_u64 s[20:21], s[20:21], 24
	s_wait_loadcnt 0x0
	v_add_nc_u64_e32 v[18:19], s[20:21], v[22:23]
	global_store_b64 v[18:19], v[26:27], off
	global_wb scope:SCOPE_SYS
	s_wait_storecnt 0x0
	s_wait_xcnt 0x0
	global_atomic_cmpswap_b64 v[24:25], v1, v[24:27], s[12:13] offset:24 th:TH_ATOMIC_RETURN scope:SCOPE_SYS
	s_wait_loadcnt 0x0
	v_cmp_ne_u64_e32 vcc_lo, v[24:25], v[26:27]
	s_wait_xcnt 0x0
	s_and_b32 exec_lo, exec_lo, vcc_lo
	s_cbranch_execz .LBB4_110
; %bb.184:                              ;   in Loop: Header=BB4_111 Depth=2
	s_mov_b32 s20, 0
.LBB4_185:                              ;   Parent Loop BB4_3 Depth=1
                                        ;     Parent Loop BB4_111 Depth=2
                                        ; =>    This Inner Loop Header: Depth=3
	v_dual_mov_b32 v22, s2 :: v_dual_mov_b32 v23, s3
	s_sleep 1
	global_store_b64 v[18:19], v[24:25], off
	global_wb scope:SCOPE_SYS
	s_wait_storecnt 0x0
	s_wait_xcnt 0x0
	global_atomic_cmpswap_b64 v[22:23], v1, v[22:25], s[12:13] offset:24 th:TH_ATOMIC_RETURN scope:SCOPE_SYS
	s_wait_loadcnt 0x0
	v_cmp_eq_u64_e32 vcc_lo, v[22:23], v[24:25]
	s_wait_xcnt 0x0
	v_mov_b64_e32 v[24:25], v[22:23]
	s_or_b32 s20, vcc_lo, s20
	s_delay_alu instid0(SALU_CYCLE_1)
	s_and_not1_b32 exec_lo, exec_lo, s20
	s_cbranch_execnz .LBB4_185
	s_branch .LBB4_110
.LBB4_186:                              ;   in Loop: Header=BB4_3 Depth=1
	s_branch .LBB4_243
.LBB4_187:                              ;   in Loop: Header=BB4_3 Depth=1
                                        ; implicit-def: $vgpr20_vgpr21
	s_cbranch_execz .LBB4_108
; %bb.188:                              ;   in Loop: Header=BB4_3 Depth=1
	v_readfirstlane_b32 s2, v46
	v_mov_b64_e32 v[6:7], 0
	s_delay_alu instid0(VALU_DEP_2)
	v_cmp_eq_u32_e64 s2, s2, v46
	s_and_saveexec_b32 s3, s2
	s_cbranch_execz .LBB4_194
; %bb.189:                              ;   in Loop: Header=BB4_3 Depth=1
	s_wait_loadcnt 0x0
	global_load_b64 v[20:21], v1, s[12:13] offset:24 scope:SCOPE_SYS
	s_wait_loadcnt 0x0
	global_inv scope:SCOPE_SYS
	s_clause 0x1
	global_load_b64 v[6:7], v1, s[12:13] offset:40
	global_load_b64 v[18:19], v1, s[12:13]
	s_mov_b32 s14, exec_lo
	s_wait_loadcnt 0x1
	v_and_b32_e32 v6, v6, v20
	v_and_b32_e32 v7, v7, v21
	s_delay_alu instid0(VALU_DEP_1) | instskip(SKIP_1) | instid1(VALU_DEP_1)
	v_mul_u64_e32 v[6:7], 24, v[6:7]
	s_wait_loadcnt 0x0
	v_add_nc_u64_e32 v[6:7], v[18:19], v[6:7]
	global_load_b64 v[18:19], v[6:7], off scope:SCOPE_SYS
	s_wait_xcnt 0x0
	s_wait_loadcnt 0x0
	global_atomic_cmpswap_b64 v[6:7], v1, v[18:21], s[12:13] offset:24 th:TH_ATOMIC_RETURN scope:SCOPE_SYS
	s_wait_loadcnt 0x0
	global_inv scope:SCOPE_SYS
	s_wait_xcnt 0x0
	v_cmpx_ne_u64_e64 v[6:7], v[20:21]
	s_cbranch_execz .LBB4_193
; %bb.190:                              ;   in Loop: Header=BB4_3 Depth=1
	s_mov_b32 s15, 0
.LBB4_191:                              ;   Parent Loop BB4_3 Depth=1
                                        ; =>  This Inner Loop Header: Depth=2
	s_sleep 1
	s_clause 0x1
	global_load_b64 v[18:19], v1, s[12:13] offset:40
	global_load_b64 v[22:23], v1, s[12:13]
	v_mov_b64_e32 v[20:21], v[6:7]
	s_wait_loadcnt 0x1
	s_delay_alu instid0(VALU_DEP_1) | instskip(SKIP_1) | instid1(VALU_DEP_1)
	v_and_b32_e32 v0, v18, v20
	s_wait_loadcnt 0x0
	v_mad_nc_u64_u32 v[6:7], v0, 24, v[22:23]
	s_delay_alu instid0(VALU_DEP_3) | instskip(NEXT) | instid1(VALU_DEP_1)
	v_and_b32_e32 v0, v19, v21
	v_mad_u32 v7, v0, 24, v7
	global_load_b64 v[18:19], v[6:7], off scope:SCOPE_SYS
	s_wait_xcnt 0x0
	s_wait_loadcnt 0x0
	global_atomic_cmpswap_b64 v[6:7], v1, v[18:21], s[12:13] offset:24 th:TH_ATOMIC_RETURN scope:SCOPE_SYS
	s_wait_loadcnt 0x0
	global_inv scope:SCOPE_SYS
	v_cmp_eq_u64_e32 vcc_lo, v[6:7], v[20:21]
	s_or_b32 s15, vcc_lo, s15
	s_wait_xcnt 0x0
	s_and_not1_b32 exec_lo, exec_lo, s15
	s_cbranch_execnz .LBB4_191
; %bb.192:                              ;   in Loop: Header=BB4_3 Depth=1
	s_or_b32 exec_lo, exec_lo, s15
.LBB4_193:                              ;   in Loop: Header=BB4_3 Depth=1
	s_delay_alu instid0(SALU_CYCLE_1)
	s_or_b32 exec_lo, exec_lo, s14
.LBB4_194:                              ;   in Loop: Header=BB4_3 Depth=1
	s_delay_alu instid0(SALU_CYCLE_1)
	s_or_b32 exec_lo, exec_lo, s3
	global_load_b64 v[18:19], v1, s[12:13] offset:40
	s_wait_loadcnt 0x1
	global_load_b128 v[20:23], v1, s[12:13]
	v_readfirstlane_b32 s14, v6
	v_readfirstlane_b32 s15, v7
	s_mov_b32 s3, exec_lo
	s_wait_loadcnt 0x1
	v_and_b32_e32 v18, s14, v18
	v_and_b32_e32 v19, s15, v19
	s_delay_alu instid0(VALU_DEP_1) | instskip(SKIP_1) | instid1(VALU_DEP_1)
	v_mul_u64_e32 v[6:7], 24, v[18:19]
	s_wait_loadcnt 0x0
	v_add_nc_u64_e32 v[6:7], v[20:21], v[6:7]
	s_wait_xcnt 0x0
	s_and_saveexec_b32 s16, s2
	s_cbranch_execz .LBB4_196
; %bb.195:                              ;   in Loop: Header=BB4_3 Depth=1
	v_mov_b32_e32 v0, s3
	global_store_b128 v[6:7], v[0:3], off offset:8
.LBB4_196:                              ;   in Loop: Header=BB4_3 Depth=1
	s_wait_xcnt 0x0
	s_or_b32 exec_lo, exec_lo, s16
	v_lshlrev_b64_e32 v[18:19], 12, v[18:19]
	v_mov_b64_e32 v[26:27], s[6:7]
	v_mov_b64_e32 v[24:25], s[4:5]
	v_and_or_b32 v16, 0xffffff1f, v16, 32
	s_delay_alu instid0(VALU_DEP_4) | instskip(SKIP_1) | instid1(VALU_DEP_2)
	v_add_nc_u64_e32 v[22:23], v[22:23], v[18:19]
	v_dual_mov_b32 v18, v1 :: v_dual_mov_b32 v19, v1
	v_readfirstlane_b32 s16, v22
	s_delay_alu instid0(VALU_DEP_3)
	v_readfirstlane_b32 s17, v23
	s_clause 0x3
	global_store_b128 v50, v[16:19], s[16:17]
	global_store_b128 v50, v[24:27], s[16:17] offset:16
	global_store_b128 v50, v[24:27], s[16:17] offset:32
	;; [unrolled: 1-line block ×3, first 2 shown]
	s_wait_xcnt 0x0
	s_and_saveexec_b32 s3, s2
	s_cbranch_execz .LBB4_204
; %bb.197:                              ;   in Loop: Header=BB4_3 Depth=1
	s_clause 0x1
	global_load_b64 v[26:27], v1, s[12:13] offset:32 scope:SCOPE_SYS
	global_load_b64 v[16:17], v1, s[12:13] offset:40
	s_mov_b32 s16, exec_lo
	v_dual_mov_b32 v24, s14 :: v_dual_mov_b32 v25, s15
	s_wait_loadcnt 0x0
	v_and_b32_e32 v17, s15, v17
	v_and_b32_e32 v16, s14, v16
	s_delay_alu instid0(VALU_DEP_1) | instskip(NEXT) | instid1(VALU_DEP_1)
	v_mul_u64_e32 v[16:17], 24, v[16:17]
	v_add_nc_u64_e32 v[20:21], v[20:21], v[16:17]
	global_store_b64 v[20:21], v[26:27], off
	global_wb scope:SCOPE_SYS
	s_wait_storecnt 0x0
	s_wait_xcnt 0x0
	global_atomic_cmpswap_b64 v[18:19], v1, v[24:27], s[12:13] offset:32 th:TH_ATOMIC_RETURN scope:SCOPE_SYS
	s_wait_loadcnt 0x0
	s_wait_xcnt 0x0
	v_cmpx_ne_u64_e64 v[18:19], v[26:27]
	s_cbranch_execz .LBB4_200
; %bb.198:                              ;   in Loop: Header=BB4_3 Depth=1
	s_mov_b32 s17, 0
.LBB4_199:                              ;   Parent Loop BB4_3 Depth=1
                                        ; =>  This Inner Loop Header: Depth=2
	v_dual_mov_b32 v16, s14 :: v_dual_mov_b32 v17, s15
	s_sleep 1
	global_store_b64 v[20:21], v[18:19], off
	global_wb scope:SCOPE_SYS
	s_wait_storecnt 0x0
	s_wait_xcnt 0x0
	global_atomic_cmpswap_b64 v[16:17], v1, v[16:19], s[12:13] offset:32 th:TH_ATOMIC_RETURN scope:SCOPE_SYS
	s_wait_loadcnt 0x0
	v_cmp_eq_u64_e32 vcc_lo, v[16:17], v[18:19]
	s_wait_xcnt 0x0
	v_mov_b64_e32 v[18:19], v[16:17]
	s_or_b32 s17, vcc_lo, s17
	s_delay_alu instid0(SALU_CYCLE_1)
	s_and_not1_b32 exec_lo, exec_lo, s17
	s_cbranch_execnz .LBB4_199
.LBB4_200:                              ;   in Loop: Header=BB4_3 Depth=1
	s_or_b32 exec_lo, exec_lo, s16
	global_load_b64 v[16:17], v1, s[12:13] offset:16
	s_mov_b32 s17, exec_lo
	s_mov_b32 s16, exec_lo
	v_mbcnt_lo_u32_b32 v0, s17, 0
	s_wait_xcnt 0x0
	s_delay_alu instid0(VALU_DEP_1)
	v_cmpx_eq_u32_e32 0, v0
	s_cbranch_execz .LBB4_202
; %bb.201:                              ;   in Loop: Header=BB4_3 Depth=1
	s_bcnt1_i32_b32 s17, s17
	s_delay_alu instid0(SALU_CYCLE_1)
	v_mov_b32_e32 v0, s17
	global_wb scope:SCOPE_SYS
	s_wait_loadcnt 0x0
	s_wait_storecnt 0x0
	global_atomic_add_u64 v[16:17], v[0:1], off offset:8 scope:SCOPE_SYS
.LBB4_202:                              ;   in Loop: Header=BB4_3 Depth=1
	s_wait_xcnt 0x0
	s_or_b32 exec_lo, exec_lo, s16
	s_wait_loadcnt 0x0
	global_load_b64 v[18:19], v[16:17], off offset:16
	s_wait_loadcnt 0x0
	v_cmp_eq_u64_e32 vcc_lo, 0, v[18:19]
	s_cbranch_vccnz .LBB4_204
; %bb.203:                              ;   in Loop: Header=BB4_3 Depth=1
	global_load_b32 v0, v[16:17], off offset:24
	s_wait_loadcnt 0x0
	v_readfirstlane_b32 s16, v0
	global_wb scope:SCOPE_SYS
	s_wait_storecnt 0x0
	s_wait_xcnt 0x0
	global_store_b64 v[18:19], v[0:1], off scope:SCOPE_SYS
	s_and_b32 m0, s16, 0xffffff
	s_sendmsg sendmsg(MSG_INTERRUPT)
.LBB4_204:                              ;   in Loop: Header=BB4_3 Depth=1
	s_wait_xcnt 0x0
	s_or_b32 exec_lo, exec_lo, s3
	v_mov_b32_e32 v51, v1
	s_delay_alu instid0(VALU_DEP_1)
	v_add_nc_u64_e32 v[16:17], v[22:23], v[50:51]
	s_branch .LBB4_208
.LBB4_205:                              ;   in Loop: Header=BB4_208 Depth=2
	s_wait_xcnt 0x0
	s_or_b32 exec_lo, exec_lo, s3
	s_delay_alu instid0(VALU_DEP_1)
	v_readfirstlane_b32 s3, v0
	s_cmp_eq_u32 s3, 0
	s_cbranch_scc1 .LBB4_207
; %bb.206:                              ;   in Loop: Header=BB4_208 Depth=2
	s_sleep 1
	s_cbranch_execnz .LBB4_208
	s_branch .LBB4_210
.LBB4_207:                              ;   in Loop: Header=BB4_3 Depth=1
	s_branch .LBB4_210
.LBB4_208:                              ;   Parent Loop BB4_3 Depth=1
                                        ; =>  This Inner Loop Header: Depth=2
	v_mov_b32_e32 v0, 1
	s_and_saveexec_b32 s3, s2
	s_cbranch_execz .LBB4_205
; %bb.209:                              ;   in Loop: Header=BB4_208 Depth=2
	global_load_b32 v0, v[6:7], off offset:20 scope:SCOPE_SYS
	s_wait_loadcnt 0x0
	global_inv scope:SCOPE_SYS
	v_and_b32_e32 v0, 1, v0
	s_branch .LBB4_205
.LBB4_210:                              ;   in Loop: Header=BB4_3 Depth=1
	global_load_b64 v[20:21], v[16:17], off
	s_wait_xcnt 0x0
	s_and_saveexec_b32 s16, s2
	s_cbranch_execz .LBB4_214
; %bb.211:                              ;   in Loop: Header=BB4_3 Depth=1
	s_clause 0x2
	global_load_b64 v[6:7], v1, s[12:13] offset:40
	global_load_b64 v[24:25], v1, s[12:13] offset:24 scope:SCOPE_SYS
	global_load_b64 v[16:17], v1, s[12:13]
	s_wait_loadcnt 0x2
	v_readfirstlane_b32 s18, v6
	v_readfirstlane_b32 s19, v7
	s_add_nc_u64 s[2:3], s[18:19], 1
	s_delay_alu instid0(SALU_CYCLE_1) | instskip(NEXT) | instid1(SALU_CYCLE_1)
	s_add_nc_u64 s[14:15], s[2:3], s[14:15]
	s_cmp_eq_u64 s[14:15], 0
	s_cselect_b32 s3, s3, s15
	s_cselect_b32 s2, s2, s14
	s_delay_alu instid0(SALU_CYCLE_1) | instskip(SKIP_1) | instid1(SALU_CYCLE_1)
	v_dual_mov_b32 v23, s3 :: v_dual_mov_b32 v22, s2
	s_and_b64 s[14:15], s[2:3], s[18:19]
	s_mul_u64 s[14:15], s[14:15], 24
	s_wait_loadcnt 0x0
	v_add_nc_u64_e32 v[6:7], s[14:15], v[16:17]
	global_store_b64 v[6:7], v[24:25], off
	global_wb scope:SCOPE_SYS
	s_wait_storecnt 0x0
	s_wait_xcnt 0x0
	global_atomic_cmpswap_b64 v[18:19], v1, v[22:25], s[12:13] offset:24 th:TH_ATOMIC_RETURN scope:SCOPE_SYS
	s_wait_loadcnt 0x0
	v_cmp_ne_u64_e32 vcc_lo, v[18:19], v[24:25]
	s_wait_xcnt 0x0
	s_and_b32 exec_lo, exec_lo, vcc_lo
	s_cbranch_execz .LBB4_214
; %bb.212:                              ;   in Loop: Header=BB4_3 Depth=1
	s_mov_b32 s14, 0
.LBB4_213:                              ;   Parent Loop BB4_3 Depth=1
                                        ; =>  This Inner Loop Header: Depth=2
	v_dual_mov_b32 v16, s2 :: v_dual_mov_b32 v17, s3
	s_sleep 1
	global_store_b64 v[6:7], v[18:19], off
	global_wb scope:SCOPE_SYS
	s_wait_storecnt 0x0
	s_wait_xcnt 0x0
	global_atomic_cmpswap_b64 v[16:17], v1, v[16:19], s[12:13] offset:24 th:TH_ATOMIC_RETURN scope:SCOPE_SYS
	s_wait_loadcnt 0x0
	v_cmp_eq_u64_e32 vcc_lo, v[16:17], v[18:19]
	s_wait_xcnt 0x0
	v_mov_b64_e32 v[18:19], v[16:17]
	s_or_b32 s14, vcc_lo, s14
	s_delay_alu instid0(SALU_CYCLE_1)
	s_and_not1_b32 exec_lo, exec_lo, s14
	s_cbranch_execnz .LBB4_213
.LBB4_214:                              ;   in Loop: Header=BB4_3 Depth=1
	s_or_b32 exec_lo, exec_lo, s16
	s_delay_alu instid0(SALU_CYCLE_1)
	s_and_b32 vcc_lo, exec_lo, s26
	s_cbranch_vccnz .LBB4_109
.LBB4_215:                              ;   in Loop: Header=BB4_3 Depth=1
                                        ; implicit-def: $vgpr16_vgpr17
	s_cbranch_execz .LBB4_243
; %bb.216:                              ;   in Loop: Header=BB4_3 Depth=1
	v_readfirstlane_b32 s2, v46
	v_mov_b64_e32 v[6:7], 0
	s_delay_alu instid0(VALU_DEP_2)
	v_cmp_eq_u32_e64 s2, s2, v46
	s_and_saveexec_b32 s3, s2
	s_cbranch_execz .LBB4_222
; %bb.217:                              ;   in Loop: Header=BB4_3 Depth=1
	global_load_b64 v[18:19], v1, s[12:13] offset:24 scope:SCOPE_SYS
	s_wait_loadcnt 0x0
	global_inv scope:SCOPE_SYS
	s_clause 0x1
	global_load_b64 v[6:7], v1, s[12:13] offset:40
	global_load_b64 v[16:17], v1, s[12:13]
	s_mov_b32 s14, exec_lo
	s_wait_loadcnt 0x1
	v_and_b32_e32 v6, v6, v18
	v_and_b32_e32 v7, v7, v19
	s_delay_alu instid0(VALU_DEP_1) | instskip(SKIP_1) | instid1(VALU_DEP_1)
	v_mul_u64_e32 v[6:7], 24, v[6:7]
	s_wait_loadcnt 0x0
	v_add_nc_u64_e32 v[6:7], v[16:17], v[6:7]
	global_load_b64 v[16:17], v[6:7], off scope:SCOPE_SYS
	s_wait_xcnt 0x0
	s_wait_loadcnt 0x0
	global_atomic_cmpswap_b64 v[6:7], v1, v[16:19], s[12:13] offset:24 th:TH_ATOMIC_RETURN scope:SCOPE_SYS
	s_wait_loadcnt 0x0
	global_inv scope:SCOPE_SYS
	s_wait_xcnt 0x0
	v_cmpx_ne_u64_e64 v[6:7], v[18:19]
	s_cbranch_execz .LBB4_221
; %bb.218:                              ;   in Loop: Header=BB4_3 Depth=1
	s_mov_b32 s15, 0
.LBB4_219:                              ;   Parent Loop BB4_3 Depth=1
                                        ; =>  This Inner Loop Header: Depth=2
	s_sleep 1
	s_clause 0x1
	global_load_b64 v[16:17], v1, s[12:13] offset:40
	global_load_b64 v[22:23], v1, s[12:13]
	v_mov_b64_e32 v[18:19], v[6:7]
	s_wait_loadcnt 0x1
	s_delay_alu instid0(VALU_DEP_1) | instskip(SKIP_1) | instid1(VALU_DEP_1)
	v_and_b32_e32 v0, v16, v18
	s_wait_loadcnt 0x0
	v_mad_nc_u64_u32 v[6:7], v0, 24, v[22:23]
	s_delay_alu instid0(VALU_DEP_3) | instskip(NEXT) | instid1(VALU_DEP_1)
	v_and_b32_e32 v0, v17, v19
	v_mad_u32 v7, v0, 24, v7
	global_load_b64 v[16:17], v[6:7], off scope:SCOPE_SYS
	s_wait_xcnt 0x0
	s_wait_loadcnt 0x0
	global_atomic_cmpswap_b64 v[6:7], v1, v[16:19], s[12:13] offset:24 th:TH_ATOMIC_RETURN scope:SCOPE_SYS
	s_wait_loadcnt 0x0
	global_inv scope:SCOPE_SYS
	v_cmp_eq_u64_e32 vcc_lo, v[6:7], v[18:19]
	s_or_b32 s15, vcc_lo, s15
	s_wait_xcnt 0x0
	s_and_not1_b32 exec_lo, exec_lo, s15
	s_cbranch_execnz .LBB4_219
; %bb.220:                              ;   in Loop: Header=BB4_3 Depth=1
	s_or_b32 exec_lo, exec_lo, s15
.LBB4_221:                              ;   in Loop: Header=BB4_3 Depth=1
	s_delay_alu instid0(SALU_CYCLE_1)
	s_or_b32 exec_lo, exec_lo, s14
.LBB4_222:                              ;   in Loop: Header=BB4_3 Depth=1
	s_delay_alu instid0(SALU_CYCLE_1)
	s_or_b32 exec_lo, exec_lo, s3
	global_load_b64 v[22:23], v1, s[12:13] offset:40
	s_wait_loadcnt 0x1
	global_load_b128 v[16:19], v1, s[12:13]
	v_readfirstlane_b32 s14, v6
	v_readfirstlane_b32 s15, v7
	s_mov_b32 s3, exec_lo
	s_wait_loadcnt 0x1
	v_and_b32_e32 v22, s14, v22
	v_and_b32_e32 v23, s15, v23
	s_delay_alu instid0(VALU_DEP_1) | instskip(SKIP_1) | instid1(VALU_DEP_1)
	v_mul_u64_e32 v[6:7], 24, v[22:23]
	s_wait_loadcnt 0x0
	v_add_nc_u64_e32 v[6:7], v[16:17], v[6:7]
	s_wait_xcnt 0x0
	s_and_saveexec_b32 s16, s2
	s_cbranch_execz .LBB4_224
; %bb.223:                              ;   in Loop: Header=BB4_3 Depth=1
	v_mov_b32_e32 v0, s3
	global_store_b128 v[6:7], v[0:3], off offset:8
.LBB4_224:                              ;   in Loop: Header=BB4_3 Depth=1
	s_wait_xcnt 0x0
	s_or_b32 exec_lo, exec_lo, s16
	v_lshlrev_b64_e32 v[22:23], 12, v[22:23]
	v_mov_b64_e32 v[28:29], s[6:7]
	v_mov_b64_e32 v[26:27], s[4:5]
	v_and_or_b32 v20, 0xffffff1f, v20, 32
	s_delay_alu instid0(VALU_DEP_4) | instskip(SKIP_1) | instid1(VALU_DEP_2)
	v_add_nc_u64_e32 v[24:25], v[18:19], v[22:23]
	v_dual_mov_b32 v22, v1 :: v_dual_mov_b32 v23, v1
	v_readfirstlane_b32 s16, v24
	s_delay_alu instid0(VALU_DEP_3)
	v_readfirstlane_b32 s17, v25
	s_clause 0x3
	global_store_b128 v50, v[20:23], s[16:17]
	global_store_b128 v50, v[26:29], s[16:17] offset:16
	global_store_b128 v50, v[26:29], s[16:17] offset:32
	;; [unrolled: 1-line block ×3, first 2 shown]
	s_wait_xcnt 0x0
	s_and_saveexec_b32 s3, s2
	s_cbranch_execz .LBB4_232
; %bb.225:                              ;   in Loop: Header=BB4_3 Depth=1
	s_clause 0x1
	global_load_b64 v[28:29], v1, s[12:13] offset:32 scope:SCOPE_SYS
	global_load_b64 v[18:19], v1, s[12:13] offset:40
	s_mov_b32 s16, exec_lo
	v_dual_mov_b32 v26, s14 :: v_dual_mov_b32 v27, s15
	s_wait_loadcnt 0x0
	v_and_b32_e32 v19, s15, v19
	v_and_b32_e32 v18, s14, v18
	s_delay_alu instid0(VALU_DEP_1) | instskip(NEXT) | instid1(VALU_DEP_1)
	v_mul_u64_e32 v[18:19], 24, v[18:19]
	v_add_nc_u64_e32 v[20:21], v[16:17], v[18:19]
	global_store_b64 v[20:21], v[28:29], off
	global_wb scope:SCOPE_SYS
	s_wait_storecnt 0x0
	s_wait_xcnt 0x0
	global_atomic_cmpswap_b64 v[18:19], v1, v[26:29], s[12:13] offset:32 th:TH_ATOMIC_RETURN scope:SCOPE_SYS
	s_wait_loadcnt 0x0
	s_wait_xcnt 0x0
	v_cmpx_ne_u64_e64 v[18:19], v[28:29]
	s_cbranch_execz .LBB4_228
; %bb.226:                              ;   in Loop: Header=BB4_3 Depth=1
	s_mov_b32 s17, 0
.LBB4_227:                              ;   Parent Loop BB4_3 Depth=1
                                        ; =>  This Inner Loop Header: Depth=2
	v_dual_mov_b32 v16, s14 :: v_dual_mov_b32 v17, s15
	s_sleep 1
	global_store_b64 v[20:21], v[18:19], off
	global_wb scope:SCOPE_SYS
	s_wait_storecnt 0x0
	s_wait_xcnt 0x0
	global_atomic_cmpswap_b64 v[16:17], v1, v[16:19], s[12:13] offset:32 th:TH_ATOMIC_RETURN scope:SCOPE_SYS
	s_wait_loadcnt 0x0
	v_cmp_eq_u64_e32 vcc_lo, v[16:17], v[18:19]
	s_wait_xcnt 0x0
	v_mov_b64_e32 v[18:19], v[16:17]
	s_or_b32 s17, vcc_lo, s17
	s_delay_alu instid0(SALU_CYCLE_1)
	s_and_not1_b32 exec_lo, exec_lo, s17
	s_cbranch_execnz .LBB4_227
.LBB4_228:                              ;   in Loop: Header=BB4_3 Depth=1
	s_or_b32 exec_lo, exec_lo, s16
	global_load_b64 v[16:17], v1, s[12:13] offset:16
	s_mov_b32 s17, exec_lo
	s_mov_b32 s16, exec_lo
	v_mbcnt_lo_u32_b32 v0, s17, 0
	s_wait_xcnt 0x0
	s_delay_alu instid0(VALU_DEP_1)
	v_cmpx_eq_u32_e32 0, v0
	s_cbranch_execz .LBB4_230
; %bb.229:                              ;   in Loop: Header=BB4_3 Depth=1
	s_bcnt1_i32_b32 s17, s17
	s_delay_alu instid0(SALU_CYCLE_1)
	v_mov_b32_e32 v0, s17
	global_wb scope:SCOPE_SYS
	s_wait_loadcnt 0x0
	s_wait_storecnt 0x0
	global_atomic_add_u64 v[16:17], v[0:1], off offset:8 scope:SCOPE_SYS
.LBB4_230:                              ;   in Loop: Header=BB4_3 Depth=1
	s_wait_xcnt 0x0
	s_or_b32 exec_lo, exec_lo, s16
	s_wait_loadcnt 0x0
	global_load_b64 v[18:19], v[16:17], off offset:16
	s_wait_loadcnt 0x0
	v_cmp_eq_u64_e32 vcc_lo, 0, v[18:19]
	s_cbranch_vccnz .LBB4_232
; %bb.231:                              ;   in Loop: Header=BB4_3 Depth=1
	global_load_b32 v0, v[16:17], off offset:24
	s_wait_loadcnt 0x0
	v_readfirstlane_b32 s16, v0
	global_wb scope:SCOPE_SYS
	s_wait_storecnt 0x0
	s_wait_xcnt 0x0
	global_store_b64 v[18:19], v[0:1], off scope:SCOPE_SYS
	s_and_b32 m0, s16, 0xffffff
	s_sendmsg sendmsg(MSG_INTERRUPT)
.LBB4_232:                              ;   in Loop: Header=BB4_3 Depth=1
	s_wait_xcnt 0x0
	s_or_b32 exec_lo, exec_lo, s3
	v_mov_b32_e32 v51, v1
	s_delay_alu instid0(VALU_DEP_1)
	v_add_nc_u64_e32 v[16:17], v[24:25], v[50:51]
	s_branch .LBB4_236
.LBB4_233:                              ;   in Loop: Header=BB4_236 Depth=2
	s_wait_xcnt 0x0
	s_or_b32 exec_lo, exec_lo, s3
	s_delay_alu instid0(VALU_DEP_1)
	v_readfirstlane_b32 s3, v0
	s_cmp_eq_u32 s3, 0
	s_cbranch_scc1 .LBB4_235
; %bb.234:                              ;   in Loop: Header=BB4_236 Depth=2
	s_sleep 1
	s_cbranch_execnz .LBB4_236
	s_branch .LBB4_238
.LBB4_235:                              ;   in Loop: Header=BB4_3 Depth=1
	s_branch .LBB4_238
.LBB4_236:                              ;   Parent Loop BB4_3 Depth=1
                                        ; =>  This Inner Loop Header: Depth=2
	v_mov_b32_e32 v0, 1
	s_and_saveexec_b32 s3, s2
	s_cbranch_execz .LBB4_233
; %bb.237:                              ;   in Loop: Header=BB4_236 Depth=2
	global_load_b32 v0, v[6:7], off offset:20 scope:SCOPE_SYS
	s_wait_loadcnt 0x0
	global_inv scope:SCOPE_SYS
	v_and_b32_e32 v0, 1, v0
	s_branch .LBB4_233
.LBB4_238:                              ;   in Loop: Header=BB4_3 Depth=1
	global_load_b64 v[16:17], v[16:17], off
	s_wait_xcnt 0x0
	s_and_saveexec_b32 s16, s2
	s_cbranch_execz .LBB4_242
; %bb.239:                              ;   in Loop: Header=BB4_3 Depth=1
	s_clause 0x2
	global_load_b64 v[6:7], v1, s[12:13] offset:40
	global_load_b64 v[22:23], v1, s[12:13] offset:24 scope:SCOPE_SYS
	global_load_b64 v[18:19], v1, s[12:13]
	s_wait_loadcnt 0x2
	v_readfirstlane_b32 s18, v6
	v_readfirstlane_b32 s19, v7
	s_add_nc_u64 s[2:3], s[18:19], 1
	s_delay_alu instid0(SALU_CYCLE_1) | instskip(NEXT) | instid1(SALU_CYCLE_1)
	s_add_nc_u64 s[14:15], s[2:3], s[14:15]
	s_cmp_eq_u64 s[14:15], 0
	s_cselect_b32 s3, s3, s15
	s_cselect_b32 s2, s2, s14
	s_delay_alu instid0(SALU_CYCLE_1) | instskip(SKIP_1) | instid1(SALU_CYCLE_1)
	v_dual_mov_b32 v21, s3 :: v_dual_mov_b32 v20, s2
	s_and_b64 s[14:15], s[2:3], s[18:19]
	s_mul_u64 s[14:15], s[14:15], 24
	s_wait_loadcnt 0x0
	v_add_nc_u64_e32 v[6:7], s[14:15], v[18:19]
	global_store_b64 v[6:7], v[22:23], off
	global_wb scope:SCOPE_SYS
	s_wait_storecnt 0x0
	s_wait_xcnt 0x0
	global_atomic_cmpswap_b64 v[20:21], v1, v[20:23], s[12:13] offset:24 th:TH_ATOMIC_RETURN scope:SCOPE_SYS
	s_wait_loadcnt 0x0
	v_cmp_ne_u64_e32 vcc_lo, v[20:21], v[22:23]
	s_wait_xcnt 0x0
	s_and_b32 exec_lo, exec_lo, vcc_lo
	s_cbranch_execz .LBB4_242
; %bb.240:                              ;   in Loop: Header=BB4_3 Depth=1
	s_mov_b32 s14, 0
.LBB4_241:                              ;   Parent Loop BB4_3 Depth=1
                                        ; =>  This Inner Loop Header: Depth=2
	v_dual_mov_b32 v18, s2 :: v_dual_mov_b32 v19, s3
	s_sleep 1
	global_store_b64 v[6:7], v[20:21], off
	global_wb scope:SCOPE_SYS
	s_wait_storecnt 0x0
	s_wait_xcnt 0x0
	global_atomic_cmpswap_b64 v[18:19], v1, v[18:21], s[12:13] offset:24 th:TH_ATOMIC_RETURN scope:SCOPE_SYS
	s_wait_loadcnt 0x0
	v_cmp_eq_u64_e32 vcc_lo, v[18:19], v[20:21]
	s_wait_xcnt 0x0
	v_mov_b64_e32 v[20:21], v[18:19]
	s_or_b32 s14, vcc_lo, s14
	s_delay_alu instid0(SALU_CYCLE_1)
	s_and_not1_b32 exec_lo, exec_lo, s14
	s_cbranch_execnz .LBB4_241
.LBB4_242:                              ;   in Loop: Header=BB4_3 Depth=1
	s_or_b32 exec_lo, exec_lo, s16
.LBB4_243:                              ;   in Loop: Header=BB4_3 Depth=1
	v_readfirstlane_b32 s2, v46
	v_mov_b64_e32 v[6:7], 0
	s_delay_alu instid0(VALU_DEP_2)
	v_cmp_eq_u32_e64 s2, s2, v46
	s_and_saveexec_b32 s3, s2
	s_cbranch_execz .LBB4_249
; %bb.244:                              ;   in Loop: Header=BB4_3 Depth=1
	s_wait_loadcnt 0x0
	global_load_b64 v[20:21], v1, s[12:13] offset:24 scope:SCOPE_SYS
	s_wait_loadcnt 0x0
	global_inv scope:SCOPE_SYS
	s_clause 0x1
	global_load_b64 v[6:7], v1, s[12:13] offset:40
	global_load_b64 v[18:19], v1, s[12:13]
	s_mov_b32 s14, exec_lo
	s_wait_loadcnt 0x1
	v_and_b32_e32 v6, v6, v20
	v_and_b32_e32 v7, v7, v21
	s_delay_alu instid0(VALU_DEP_1) | instskip(SKIP_1) | instid1(VALU_DEP_1)
	v_mul_u64_e32 v[6:7], 24, v[6:7]
	s_wait_loadcnt 0x0
	v_add_nc_u64_e32 v[6:7], v[18:19], v[6:7]
	global_load_b64 v[18:19], v[6:7], off scope:SCOPE_SYS
	s_wait_xcnt 0x0
	s_wait_loadcnt 0x0
	global_atomic_cmpswap_b64 v[6:7], v1, v[18:21], s[12:13] offset:24 th:TH_ATOMIC_RETURN scope:SCOPE_SYS
	s_wait_loadcnt 0x0
	global_inv scope:SCOPE_SYS
	s_wait_xcnt 0x0
	v_cmpx_ne_u64_e64 v[6:7], v[20:21]
	s_cbranch_execz .LBB4_248
; %bb.245:                              ;   in Loop: Header=BB4_3 Depth=1
	s_mov_b32 s15, 0
.LBB4_246:                              ;   Parent Loop BB4_3 Depth=1
                                        ; =>  This Inner Loop Header: Depth=2
	s_sleep 1
	s_clause 0x1
	global_load_b64 v[18:19], v1, s[12:13] offset:40
	global_load_b64 v[22:23], v1, s[12:13]
	v_mov_b64_e32 v[20:21], v[6:7]
	s_wait_loadcnt 0x1
	s_delay_alu instid0(VALU_DEP_1) | instskip(SKIP_1) | instid1(VALU_DEP_1)
	v_and_b32_e32 v0, v18, v20
	s_wait_loadcnt 0x0
	v_mad_nc_u64_u32 v[6:7], v0, 24, v[22:23]
	s_delay_alu instid0(VALU_DEP_3) | instskip(NEXT) | instid1(VALU_DEP_1)
	v_and_b32_e32 v0, v19, v21
	v_mad_u32 v7, v0, 24, v7
	global_load_b64 v[18:19], v[6:7], off scope:SCOPE_SYS
	s_wait_xcnt 0x0
	s_wait_loadcnt 0x0
	global_atomic_cmpswap_b64 v[6:7], v1, v[18:21], s[12:13] offset:24 th:TH_ATOMIC_RETURN scope:SCOPE_SYS
	s_wait_loadcnt 0x0
	global_inv scope:SCOPE_SYS
	v_cmp_eq_u64_e32 vcc_lo, v[6:7], v[20:21]
	s_or_b32 s15, vcc_lo, s15
	s_wait_xcnt 0x0
	s_and_not1_b32 exec_lo, exec_lo, s15
	s_cbranch_execnz .LBB4_246
; %bb.247:                              ;   in Loop: Header=BB4_3 Depth=1
	s_or_b32 exec_lo, exec_lo, s15
.LBB4_248:                              ;   in Loop: Header=BB4_3 Depth=1
	s_delay_alu instid0(SALU_CYCLE_1)
	s_or_b32 exec_lo, exec_lo, s14
.LBB4_249:                              ;   in Loop: Header=BB4_3 Depth=1
	s_delay_alu instid0(SALU_CYCLE_1)
	s_or_b32 exec_lo, exec_lo, s3
	global_load_b64 v[18:19], v1, s[12:13] offset:40
	s_wait_loadcnt 0x1
	global_load_b128 v[20:23], v1, s[12:13]
	v_readfirstlane_b32 s14, v6
	v_readfirstlane_b32 s15, v7
	s_mov_b32 s3, exec_lo
	s_wait_loadcnt 0x1
	v_and_b32_e32 v18, s14, v18
	v_and_b32_e32 v19, s15, v19
	s_delay_alu instid0(VALU_DEP_1) | instskip(SKIP_1) | instid1(VALU_DEP_1)
	v_mul_u64_e32 v[6:7], 24, v[18:19]
	s_wait_loadcnt 0x0
	v_add_nc_u64_e32 v[6:7], v[20:21], v[6:7]
	s_wait_xcnt 0x0
	s_and_saveexec_b32 s16, s2
	s_cbranch_execz .LBB4_251
; %bb.250:                              ;   in Loop: Header=BB4_3 Depth=1
	v_mov_b32_e32 v0, s3
	global_store_b128 v[6:7], v[0:3], off offset:8
.LBB4_251:                              ;   in Loop: Header=BB4_3 Depth=1
	s_wait_xcnt 0x0
	s_or_b32 exec_lo, exec_lo, s16
	v_lshlrev_b64_e32 v[18:19], 12, v[18:19]
	v_mov_b64_e32 v[28:29], s[6:7]
	v_mov_b64_e32 v[26:27], s[4:5]
	v_and_or_b32 v16, 0xffffff1d, v16, 34
	s_delay_alu instid0(VALU_DEP_4) | instskip(SKIP_1) | instid1(VALU_DEP_2)
	v_add_nc_u64_e32 v[24:25], v[22:23], v[18:19]
	v_dual_mov_b32 v19, v1 :: v_dual_add_nc_u32 v18, s27, v47
	v_readfirstlane_b32 s16, v24
	s_delay_alu instid0(VALU_DEP_3)
	v_readfirstlane_b32 s17, v25
	s_clause 0x3
	global_store_b128 v50, v[16:19], s[16:17]
	global_store_b128 v50, v[26:29], s[16:17] offset:16
	global_store_b128 v50, v[26:29], s[16:17] offset:32
	;; [unrolled: 1-line block ×3, first 2 shown]
	s_wait_xcnt 0x0
	s_and_saveexec_b32 s3, s2
	s_cbranch_execz .LBB4_259
; %bb.252:                              ;   in Loop: Header=BB4_3 Depth=1
	s_clause 0x1
	global_load_b64 v[28:29], v1, s[12:13] offset:32 scope:SCOPE_SYS
	global_load_b64 v[16:17], v1, s[12:13] offset:40
	s_mov_b32 s16, exec_lo
	v_dual_mov_b32 v26, s14 :: v_dual_mov_b32 v27, s15
	s_wait_loadcnt 0x0
	v_and_b32_e32 v17, s15, v17
	v_and_b32_e32 v16, s14, v16
	s_delay_alu instid0(VALU_DEP_1) | instskip(NEXT) | instid1(VALU_DEP_1)
	v_mul_u64_e32 v[16:17], 24, v[16:17]
	v_add_nc_u64_e32 v[16:17], v[20:21], v[16:17]
	global_store_b64 v[16:17], v[28:29], off
	global_wb scope:SCOPE_SYS
	s_wait_storecnt 0x0
	s_wait_xcnt 0x0
	global_atomic_cmpswap_b64 v[22:23], v1, v[26:29], s[12:13] offset:32 th:TH_ATOMIC_RETURN scope:SCOPE_SYS
	s_wait_loadcnt 0x0
	s_wait_xcnt 0x0
	v_cmpx_ne_u64_e64 v[22:23], v[28:29]
	s_cbranch_execz .LBB4_255
; %bb.253:                              ;   in Loop: Header=BB4_3 Depth=1
	s_mov_b32 s17, 0
.LBB4_254:                              ;   Parent Loop BB4_3 Depth=1
                                        ; =>  This Inner Loop Header: Depth=2
	v_dual_mov_b32 v20, s14 :: v_dual_mov_b32 v21, s15
	s_sleep 1
	global_store_b64 v[16:17], v[22:23], off
	global_wb scope:SCOPE_SYS
	s_wait_storecnt 0x0
	s_wait_xcnt 0x0
	global_atomic_cmpswap_b64 v[20:21], v1, v[20:23], s[12:13] offset:32 th:TH_ATOMIC_RETURN scope:SCOPE_SYS
	s_wait_loadcnt 0x0
	v_cmp_eq_u64_e32 vcc_lo, v[20:21], v[22:23]
	s_wait_xcnt 0x0
	v_mov_b64_e32 v[22:23], v[20:21]
	s_or_b32 s17, vcc_lo, s17
	s_delay_alu instid0(SALU_CYCLE_1)
	s_and_not1_b32 exec_lo, exec_lo, s17
	s_cbranch_execnz .LBB4_254
.LBB4_255:                              ;   in Loop: Header=BB4_3 Depth=1
	s_or_b32 exec_lo, exec_lo, s16
	global_load_b64 v[16:17], v1, s[12:13] offset:16
	s_mov_b32 s17, exec_lo
	s_mov_b32 s16, exec_lo
	v_mbcnt_lo_u32_b32 v0, s17, 0
	s_wait_xcnt 0x0
	s_delay_alu instid0(VALU_DEP_1)
	v_cmpx_eq_u32_e32 0, v0
	s_cbranch_execz .LBB4_257
; %bb.256:                              ;   in Loop: Header=BB4_3 Depth=1
	s_bcnt1_i32_b32 s17, s17
	s_delay_alu instid0(SALU_CYCLE_1)
	v_mov_b32_e32 v0, s17
	global_wb scope:SCOPE_SYS
	s_wait_loadcnt 0x0
	s_wait_storecnt 0x0
	global_atomic_add_u64 v[16:17], v[0:1], off offset:8 scope:SCOPE_SYS
.LBB4_257:                              ;   in Loop: Header=BB4_3 Depth=1
	s_wait_xcnt 0x0
	s_or_b32 exec_lo, exec_lo, s16
	s_wait_loadcnt 0x0
	global_load_b64 v[20:21], v[16:17], off offset:16
	s_wait_loadcnt 0x0
	v_cmp_eq_u64_e32 vcc_lo, 0, v[20:21]
	s_cbranch_vccnz .LBB4_259
; %bb.258:                              ;   in Loop: Header=BB4_3 Depth=1
	global_load_b32 v0, v[16:17], off offset:24
	s_wait_loadcnt 0x0
	v_readfirstlane_b32 s16, v0
	global_wb scope:SCOPE_SYS
	s_wait_storecnt 0x0
	s_wait_xcnt 0x0
	global_store_b64 v[20:21], v[0:1], off scope:SCOPE_SYS
	s_and_b32 m0, s16, 0xffffff
	s_sendmsg sendmsg(MSG_INTERRUPT)
.LBB4_259:                              ;   in Loop: Header=BB4_3 Depth=1
	s_wait_xcnt 0x0
	s_or_b32 exec_lo, exec_lo, s3
	v_mov_b32_e32 v51, v1
	s_delay_alu instid0(VALU_DEP_1)
	v_add_nc_u64_e32 v[16:17], v[24:25], v[50:51]
	s_branch .LBB4_263
.LBB4_260:                              ;   in Loop: Header=BB4_263 Depth=2
	s_wait_xcnt 0x0
	s_or_b32 exec_lo, exec_lo, s3
	s_delay_alu instid0(VALU_DEP_1)
	v_readfirstlane_b32 s3, v0
	s_cmp_eq_u32 s3, 0
	s_cbranch_scc1 .LBB4_262
; %bb.261:                              ;   in Loop: Header=BB4_263 Depth=2
	s_sleep 1
	s_cbranch_execnz .LBB4_263
	s_branch .LBB4_265
.LBB4_262:                              ;   in Loop: Header=BB4_3 Depth=1
	s_branch .LBB4_265
.LBB4_263:                              ;   Parent Loop BB4_3 Depth=1
                                        ; =>  This Inner Loop Header: Depth=2
	v_mov_b32_e32 v0, 1
	s_and_saveexec_b32 s3, s2
	s_cbranch_execz .LBB4_260
; %bb.264:                              ;   in Loop: Header=BB4_263 Depth=2
	global_load_b32 v0, v[6:7], off offset:20 scope:SCOPE_SYS
	s_wait_loadcnt 0x0
	global_inv scope:SCOPE_SYS
	v_and_b32_e32 v0, 1, v0
	s_branch .LBB4_260
.LBB4_265:                              ;   in Loop: Header=BB4_3 Depth=1
	global_load_b64 v[54:55], v[16:17], off
	s_wait_xcnt 0x0
	s_and_saveexec_b32 s16, s2
	s_cbranch_execz .LBB4_269
; %bb.266:                              ;   in Loop: Header=BB4_3 Depth=1
	s_clause 0x2
	global_load_b64 v[6:7], v1, s[12:13] offset:40
	global_load_b64 v[24:25], v1, s[12:13] offset:24 scope:SCOPE_SYS
	global_load_b64 v[16:17], v1, s[12:13]
	s_wait_loadcnt 0x2
	v_readfirstlane_b32 s18, v6
	v_readfirstlane_b32 s19, v7
	s_add_nc_u64 s[2:3], s[18:19], 1
	s_delay_alu instid0(SALU_CYCLE_1) | instskip(NEXT) | instid1(SALU_CYCLE_1)
	s_add_nc_u64 s[14:15], s[2:3], s[14:15]
	s_cmp_eq_u64 s[14:15], 0
	s_cselect_b32 s3, s3, s15
	s_cselect_b32 s2, s2, s14
	s_delay_alu instid0(SALU_CYCLE_1) | instskip(SKIP_1) | instid1(SALU_CYCLE_1)
	v_dual_mov_b32 v23, s3 :: v_dual_mov_b32 v22, s2
	s_and_b64 s[14:15], s[2:3], s[18:19]
	s_mul_u64 s[14:15], s[14:15], 24
	s_wait_loadcnt 0x0
	v_add_nc_u64_e32 v[6:7], s[14:15], v[16:17]
	global_store_b64 v[6:7], v[24:25], off
	global_wb scope:SCOPE_SYS
	s_wait_storecnt 0x0
	s_wait_xcnt 0x0
	global_atomic_cmpswap_b64 v[22:23], v1, v[22:25], s[12:13] offset:24 th:TH_ATOMIC_RETURN scope:SCOPE_SYS
	s_wait_loadcnt 0x0
	v_cmp_ne_u64_e32 vcc_lo, v[22:23], v[24:25]
	s_wait_xcnt 0x0
	s_and_b32 exec_lo, exec_lo, vcc_lo
	s_cbranch_execz .LBB4_269
; %bb.267:                              ;   in Loop: Header=BB4_3 Depth=1
	s_mov_b32 s14, 0
.LBB4_268:                              ;   Parent Loop BB4_3 Depth=1
                                        ; =>  This Inner Loop Header: Depth=2
	v_dual_mov_b32 v20, s2 :: v_dual_mov_b32 v21, s3
	s_sleep 1
	global_store_b64 v[6:7], v[22:23], off
	global_wb scope:SCOPE_SYS
	s_wait_storecnt 0x0
	s_wait_xcnt 0x0
	global_atomic_cmpswap_b64 v[16:17], v1, v[20:23], s[12:13] offset:24 th:TH_ATOMIC_RETURN scope:SCOPE_SYS
	s_wait_loadcnt 0x0
	v_cmp_eq_u64_e32 vcc_lo, v[16:17], v[22:23]
	s_wait_xcnt 0x0
	v_mov_b64_e32 v[22:23], v[16:17]
	s_or_b32 s14, vcc_lo, s14
	s_delay_alu instid0(SALU_CYCLE_1)
	s_and_not1_b32 exec_lo, exec_lo, s14
	s_cbranch_execnz .LBB4_268
.LBB4_269:                              ;   in Loop: Header=BB4_3 Depth=1
	s_or_b32 exec_lo, exec_lo, s16
	v_readfirstlane_b32 s2, v46
	v_mov_b64_e32 v[6:7], 0
	s_delay_alu instid0(VALU_DEP_2)
	v_cmp_eq_u32_e64 s2, s2, v46
	s_and_saveexec_b32 s3, s2
	s_cbranch_execz .LBB4_275
; %bb.270:                              ;   in Loop: Header=BB4_3 Depth=1
	global_load_b64 v[22:23], v1, s[12:13] offset:24 scope:SCOPE_SYS
	s_wait_loadcnt 0x0
	global_inv scope:SCOPE_SYS
	s_clause 0x1
	global_load_b64 v[6:7], v1, s[12:13] offset:40
	global_load_b64 v[16:17], v1, s[12:13]
	s_mov_b32 s14, exec_lo
	s_wait_loadcnt 0x1
	v_and_b32_e32 v6, v6, v22
	v_and_b32_e32 v7, v7, v23
	s_delay_alu instid0(VALU_DEP_1) | instskip(SKIP_1) | instid1(VALU_DEP_1)
	v_mul_u64_e32 v[6:7], 24, v[6:7]
	s_wait_loadcnt 0x0
	v_add_nc_u64_e32 v[6:7], v[16:17], v[6:7]
	global_load_b64 v[20:21], v[6:7], off scope:SCOPE_SYS
	s_wait_xcnt 0x0
	s_wait_loadcnt 0x0
	global_atomic_cmpswap_b64 v[6:7], v1, v[20:23], s[12:13] offset:24 th:TH_ATOMIC_RETURN scope:SCOPE_SYS
	s_wait_loadcnt 0x0
	global_inv scope:SCOPE_SYS
	s_wait_xcnt 0x0
	v_cmpx_ne_u64_e64 v[6:7], v[22:23]
	s_cbranch_execz .LBB4_274
; %bb.271:                              ;   in Loop: Header=BB4_3 Depth=1
	s_mov_b32 s15, 0
.LBB4_272:                              ;   Parent Loop BB4_3 Depth=1
                                        ; =>  This Inner Loop Header: Depth=2
	s_sleep 1
	s_clause 0x1
	global_load_b64 v[16:17], v1, s[12:13] offset:40
	global_load_b64 v[20:21], v1, s[12:13]
	v_mov_b64_e32 v[22:23], v[6:7]
	s_wait_loadcnt 0x1
	s_delay_alu instid0(VALU_DEP_1) | instskip(SKIP_1) | instid1(VALU_DEP_1)
	v_and_b32_e32 v0, v16, v22
	s_wait_loadcnt 0x0
	v_mad_nc_u64_u32 v[6:7], v0, 24, v[20:21]
	s_delay_alu instid0(VALU_DEP_3) | instskip(NEXT) | instid1(VALU_DEP_1)
	v_and_b32_e32 v0, v17, v23
	v_mad_u32 v7, v0, 24, v7
	global_load_b64 v[20:21], v[6:7], off scope:SCOPE_SYS
	s_wait_xcnt 0x0
	s_wait_loadcnt 0x0
	global_atomic_cmpswap_b64 v[6:7], v1, v[20:23], s[12:13] offset:24 th:TH_ATOMIC_RETURN scope:SCOPE_SYS
	s_wait_loadcnt 0x0
	global_inv scope:SCOPE_SYS
	v_cmp_eq_u64_e32 vcc_lo, v[6:7], v[22:23]
	s_or_b32 s15, vcc_lo, s15
	s_wait_xcnt 0x0
	s_and_not1_b32 exec_lo, exec_lo, s15
	s_cbranch_execnz .LBB4_272
; %bb.273:                              ;   in Loop: Header=BB4_3 Depth=1
	s_or_b32 exec_lo, exec_lo, s15
.LBB4_274:                              ;   in Loop: Header=BB4_3 Depth=1
	s_delay_alu instid0(SALU_CYCLE_1)
	s_or_b32 exec_lo, exec_lo, s14
.LBB4_275:                              ;   in Loop: Header=BB4_3 Depth=1
	s_delay_alu instid0(SALU_CYCLE_1)
	s_or_b32 exec_lo, exec_lo, s3
	s_clause 0x1
	global_load_b64 v[16:17], v1, s[12:13] offset:40
	global_load_b128 v[20:23], v1, s[12:13]
	v_readfirstlane_b32 s14, v6
	v_readfirstlane_b32 s15, v7
	s_mov_b32 s3, exec_lo
	s_wait_loadcnt 0x1
	v_and_b32_e32 v6, s14, v16
	v_and_b32_e32 v7, s15, v17
	s_delay_alu instid0(VALU_DEP_1) | instskip(SKIP_1) | instid1(VALU_DEP_1)
	v_mul_u64_e32 v[16:17], 24, v[6:7]
	s_wait_loadcnt 0x0
	v_add_nc_u64_e32 v[16:17], v[20:21], v[16:17]
	s_wait_xcnt 0x0
	s_and_saveexec_b32 s16, s2
	s_cbranch_execz .LBB4_277
; %bb.276:                              ;   in Loop: Header=BB4_3 Depth=1
	v_mov_b32_e32 v0, s3
	global_store_b128 v[16:17], v[0:3], off offset:8
.LBB4_277:                              ;   in Loop: Header=BB4_3 Depth=1
	s_wait_xcnt 0x0
	s_or_b32 exec_lo, exec_lo, s16
	v_lshlrev_b64_e32 v[6:7], 12, v[6:7]
	v_mov_b64_e32 v[28:29], s[6:7]
	v_mov_b64_e32 v[26:27], s[4:5]
	v_mov_b32_e32 v5, v1
	s_delay_alu instid0(VALU_DEP_4) | instskip(SKIP_1) | instid1(VALU_DEP_2)
	v_add_nc_u64_e32 v[24:25], v[22:23], v[6:7]
	v_dual_mov_b32 v6, v1 :: v_dual_mov_b32 v7, v1
	v_readfirstlane_b32 s16, v24
	s_delay_alu instid0(VALU_DEP_3)
	v_readfirstlane_b32 s17, v25
	s_clause 0x3
	global_store_b128 v50, v[4:7], s[16:17]
	global_store_b128 v50, v[26:29], s[16:17] offset:16
	global_store_b128 v50, v[26:29], s[16:17] offset:32
	;; [unrolled: 1-line block ×3, first 2 shown]
	s_wait_xcnt 0x0
	s_and_saveexec_b32 s3, s2
	s_cbranch_execz .LBB4_285
; %bb.278:                              ;   in Loop: Header=BB4_3 Depth=1
	s_clause 0x1
	global_load_b64 v[28:29], v1, s[12:13] offset:32 scope:SCOPE_SYS
	global_load_b64 v[6:7], v1, s[12:13] offset:40
	s_mov_b32 s16, exec_lo
	v_dual_mov_b32 v26, s14 :: v_dual_mov_b32 v27, s15
	s_wait_loadcnt 0x0
	v_and_b32_e32 v7, s15, v7
	v_and_b32_e32 v6, s14, v6
	s_delay_alu instid0(VALU_DEP_1) | instskip(NEXT) | instid1(VALU_DEP_1)
	v_mul_u64_e32 v[6:7], 24, v[6:7]
	v_add_nc_u64_e32 v[6:7], v[20:21], v[6:7]
	global_store_b64 v[6:7], v[28:29], off
	global_wb scope:SCOPE_SYS
	s_wait_storecnt 0x0
	s_wait_xcnt 0x0
	global_atomic_cmpswap_b64 v[22:23], v1, v[26:29], s[12:13] offset:32 th:TH_ATOMIC_RETURN scope:SCOPE_SYS
	s_wait_loadcnt 0x0
	s_wait_xcnt 0x0
	v_cmpx_ne_u64_e64 v[22:23], v[28:29]
	s_cbranch_execz .LBB4_281
; %bb.279:                              ;   in Loop: Header=BB4_3 Depth=1
	s_mov_b32 s17, 0
.LBB4_280:                              ;   Parent Loop BB4_3 Depth=1
                                        ; =>  This Inner Loop Header: Depth=2
	v_dual_mov_b32 v20, s14 :: v_dual_mov_b32 v21, s15
	s_sleep 1
	global_store_b64 v[6:7], v[22:23], off
	global_wb scope:SCOPE_SYS
	s_wait_storecnt 0x0
	s_wait_xcnt 0x0
	global_atomic_cmpswap_b64 v[20:21], v1, v[20:23], s[12:13] offset:32 th:TH_ATOMIC_RETURN scope:SCOPE_SYS
	s_wait_loadcnt 0x0
	v_cmp_eq_u64_e32 vcc_lo, v[20:21], v[22:23]
	s_wait_xcnt 0x0
	v_mov_b64_e32 v[22:23], v[20:21]
	s_or_b32 s17, vcc_lo, s17
	s_delay_alu instid0(SALU_CYCLE_1)
	s_and_not1_b32 exec_lo, exec_lo, s17
	s_cbranch_execnz .LBB4_280
.LBB4_281:                              ;   in Loop: Header=BB4_3 Depth=1
	s_or_b32 exec_lo, exec_lo, s16
	global_load_b64 v[6:7], v1, s[12:13] offset:16
	s_mov_b32 s17, exec_lo
	s_mov_b32 s16, exec_lo
	v_mbcnt_lo_u32_b32 v0, s17, 0
	s_wait_xcnt 0x0
	s_delay_alu instid0(VALU_DEP_1)
	v_cmpx_eq_u32_e32 0, v0
	s_cbranch_execz .LBB4_283
; %bb.282:                              ;   in Loop: Header=BB4_3 Depth=1
	s_bcnt1_i32_b32 s17, s17
	s_delay_alu instid0(SALU_CYCLE_1)
	v_mov_b32_e32 v0, s17
	global_wb scope:SCOPE_SYS
	s_wait_loadcnt 0x0
	s_wait_storecnt 0x0
	global_atomic_add_u64 v[6:7], v[0:1], off offset:8 scope:SCOPE_SYS
.LBB4_283:                              ;   in Loop: Header=BB4_3 Depth=1
	s_wait_xcnt 0x0
	s_or_b32 exec_lo, exec_lo, s16
	s_wait_loadcnt 0x0
	global_load_b64 v[20:21], v[6:7], off offset:16
	s_wait_loadcnt 0x0
	v_cmp_eq_u64_e32 vcc_lo, 0, v[20:21]
	s_cbranch_vccnz .LBB4_285
; %bb.284:                              ;   in Loop: Header=BB4_3 Depth=1
	global_load_b32 v0, v[6:7], off offset:24
	s_wait_loadcnt 0x0
	v_readfirstlane_b32 s16, v0
	global_wb scope:SCOPE_SYS
	s_wait_storecnt 0x0
	s_wait_xcnt 0x0
	global_store_b64 v[20:21], v[0:1], off scope:SCOPE_SYS
	s_and_b32 m0, s16, 0xffffff
	s_sendmsg sendmsg(MSG_INTERRUPT)
.LBB4_285:                              ;   in Loop: Header=BB4_3 Depth=1
	s_wait_xcnt 0x0
	s_or_b32 exec_lo, exec_lo, s3
	v_mov_b32_e32 v51, v1
	s_delay_alu instid0(VALU_DEP_1)
	v_add_nc_u64_e32 v[6:7], v[24:25], v[50:51]
	s_branch .LBB4_289
.LBB4_286:                              ;   in Loop: Header=BB4_289 Depth=2
	s_wait_xcnt 0x0
	s_or_b32 exec_lo, exec_lo, s3
	s_delay_alu instid0(VALU_DEP_1)
	v_readfirstlane_b32 s3, v0
	s_cmp_eq_u32 s3, 0
	s_cbranch_scc1 .LBB4_288
; %bb.287:                              ;   in Loop: Header=BB4_289 Depth=2
	s_sleep 1
	s_cbranch_execnz .LBB4_289
	s_branch .LBB4_291
.LBB4_288:                              ;   in Loop: Header=BB4_3 Depth=1
	s_branch .LBB4_291
.LBB4_289:                              ;   Parent Loop BB4_3 Depth=1
                                        ; =>  This Inner Loop Header: Depth=2
	v_mov_b32_e32 v0, 1
	s_and_saveexec_b32 s3, s2
	s_cbranch_execz .LBB4_286
; %bb.290:                              ;   in Loop: Header=BB4_289 Depth=2
	global_load_b32 v0, v[16:17], off offset:20 scope:SCOPE_SYS
	s_wait_loadcnt 0x0
	global_inv scope:SCOPE_SYS
	v_and_b32_e32 v0, 1, v0
	s_branch .LBB4_286
.LBB4_291:                              ;   in Loop: Header=BB4_3 Depth=1
	global_load_b64 v[20:21], v[6:7], off
	s_wait_xcnt 0x0
	s_and_saveexec_b32 s16, s2
	s_cbranch_execz .LBB4_295
; %bb.292:                              ;   in Loop: Header=BB4_3 Depth=1
	s_clause 0x2
	global_load_b64 v[6:7], v1, s[12:13] offset:40
	global_load_b64 v[26:27], v1, s[12:13] offset:24 scope:SCOPE_SYS
	global_load_b64 v[16:17], v1, s[12:13]
	s_wait_loadcnt 0x2
	v_readfirstlane_b32 s18, v6
	v_readfirstlane_b32 s19, v7
	s_add_nc_u64 s[2:3], s[18:19], 1
	s_delay_alu instid0(SALU_CYCLE_1) | instskip(NEXT) | instid1(SALU_CYCLE_1)
	s_add_nc_u64 s[14:15], s[2:3], s[14:15]
	s_cmp_eq_u64 s[14:15], 0
	s_cselect_b32 s3, s3, s15
	s_cselect_b32 s2, s2, s14
	s_delay_alu instid0(SALU_CYCLE_1) | instskip(SKIP_1) | instid1(SALU_CYCLE_1)
	v_dual_mov_b32 v25, s3 :: v_dual_mov_b32 v24, s2
	s_and_b64 s[14:15], s[2:3], s[18:19]
	s_mul_u64 s[14:15], s[14:15], 24
	s_wait_loadcnt 0x0
	v_add_nc_u64_e32 v[6:7], s[14:15], v[16:17]
	global_store_b64 v[6:7], v[26:27], off
	global_wb scope:SCOPE_SYS
	s_wait_storecnt 0x0
	s_wait_xcnt 0x0
	global_atomic_cmpswap_b64 v[24:25], v1, v[24:27], s[12:13] offset:24 th:TH_ATOMIC_RETURN scope:SCOPE_SYS
	s_wait_loadcnt 0x0
	v_cmp_ne_u64_e32 vcc_lo, v[24:25], v[26:27]
	s_wait_xcnt 0x0
	s_and_b32 exec_lo, exec_lo, vcc_lo
	s_cbranch_execz .LBB4_295
; %bb.293:                              ;   in Loop: Header=BB4_3 Depth=1
	s_mov_b32 s14, 0
.LBB4_294:                              ;   Parent Loop BB4_3 Depth=1
                                        ; =>  This Inner Loop Header: Depth=2
	v_dual_mov_b32 v22, s2 :: v_dual_mov_b32 v23, s3
	s_sleep 1
	global_store_b64 v[6:7], v[24:25], off
	global_wb scope:SCOPE_SYS
	s_wait_storecnt 0x0
	s_wait_xcnt 0x0
	global_atomic_cmpswap_b64 v[16:17], v1, v[22:25], s[12:13] offset:24 th:TH_ATOMIC_RETURN scope:SCOPE_SYS
	s_wait_loadcnt 0x0
	v_cmp_eq_u64_e32 vcc_lo, v[16:17], v[24:25]
	s_wait_xcnt 0x0
	v_mov_b64_e32 v[24:25], v[16:17]
	s_or_b32 s14, vcc_lo, s14
	s_delay_alu instid0(SALU_CYCLE_1)
	s_and_not1_b32 exec_lo, exec_lo, s14
	s_cbranch_execnz .LBB4_294
.LBB4_295:                              ;   in Loop: Header=BB4_3 Depth=1
	s_or_b32 exec_lo, exec_lo, s16
	s_delay_alu instid0(SALU_CYCLE_1)
	s_and_b32 vcc_lo, exec_lo, s25
	s_cbranch_vccz .LBB4_453
; %bb.296:                              ;   in Loop: Header=BB4_3 Depth=1
	s_wait_loadcnt 0x0
	v_dual_mov_b32 v25, v21 :: v_dual_bitop2_b32 v6, 2, v20 bitop3:0x40
	v_and_b32_e32 v24, -3, v20
	s_mov_b64 s[16:17], 6
	s_get_pc_i64 s[14:15]
	s_add_nc_u64 s[14:15], s[14:15], .str.7@rel64+4
	s_branch .LBB4_298
.LBB4_297:                              ;   in Loop: Header=BB4_298 Depth=2
	s_or_b32 exec_lo, exec_lo, s22
	s_sub_nc_u64 s[16:17], s[16:17], s[18:19]
	s_add_nc_u64 s[14:15], s[14:15], s[18:19]
	s_cmp_lg_u64 s[16:17], 0
	s_cbranch_scc0 .LBB4_373
.LBB4_298:                              ;   Parent Loop BB4_3 Depth=1
                                        ; =>  This Loop Header: Depth=2
                                        ;       Child Loop BB4_301 Depth 3
                                        ;       Child Loop BB4_308 Depth 3
	;; [unrolled: 1-line block ×11, first 2 shown]
	v_min_u64 v[16:17], s[16:17], 56
	v_cmp_gt_u64_e64 s2, s[16:17], 7
	s_and_b32 vcc_lo, exec_lo, s2
	v_readfirstlane_b32 s18, v16
	v_readfirstlane_b32 s19, v17
	s_cbranch_vccnz .LBB4_303
; %bb.299:                              ;   in Loop: Header=BB4_298 Depth=2
	v_mov_b64_e32 v[26:27], 0
	s_cmp_eq_u64 s[16:17], 0
	s_cbranch_scc1 .LBB4_302
; %bb.300:                              ;   in Loop: Header=BB4_298 Depth=2
	s_mov_b64 s[2:3], 0
	s_mov_b64 s[20:21], 0
.LBB4_301:                              ;   Parent Loop BB4_3 Depth=1
                                        ;     Parent Loop BB4_298 Depth=2
                                        ; =>    This Inner Loop Header: Depth=3
	s_wait_xcnt 0x0
	s_add_nc_u64 s[22:23], s[14:15], s[20:21]
	s_add_nc_u64 s[20:21], s[20:21], 1
	global_load_u8 v0, v1, s[22:23]
	s_cmp_lg_u32 s18, s20
	s_wait_loadcnt 0x0
	v_and_b32_e32 v0, 0xffff, v0
	s_delay_alu instid0(VALU_DEP_1) | instskip(SKIP_1) | instid1(VALU_DEP_1)
	v_lshlrev_b64_e32 v[16:17], s2, v[0:1]
	s_add_nc_u64 s[2:3], s[2:3], 8
	v_or_b32_e32 v26, v16, v26
	s_delay_alu instid0(VALU_DEP_2)
	v_or_b32_e32 v27, v17, v27
	s_cbranch_scc1 .LBB4_301
.LBB4_302:                              ;   in Loop: Header=BB4_298 Depth=2
	s_mov_b64 s[2:3], s[14:15]
	s_mov_b32 s28, 0
	s_cbranch_execz .LBB4_304
	s_branch .LBB4_305
.LBB4_303:                              ;   in Loop: Header=BB4_298 Depth=2
	s_add_nc_u64 s[2:3], s[14:15], 8
	s_mov_b32 s28, 0
.LBB4_304:                              ;   in Loop: Header=BB4_298 Depth=2
	global_load_b64 v[26:27], v1, s[14:15]
	s_add_co_i32 s28, s18, -8
.LBB4_305:                              ;   in Loop: Header=BB4_298 Depth=2
	s_delay_alu instid0(SALU_CYCLE_1)
	s_cmp_gt_u32 s28, 7
	s_cbranch_scc1 .LBB4_310
; %bb.306:                              ;   in Loop: Header=BB4_298 Depth=2
	v_mov_b64_e32 v[28:29], 0
	s_cmp_eq_u32 s28, 0
	s_cbranch_scc1 .LBB4_309
; %bb.307:                              ;   in Loop: Header=BB4_298 Depth=2
	s_mov_b64 s[20:21], 0
	s_wait_xcnt 0x0
	s_mov_b64 s[22:23], 0
.LBB4_308:                              ;   Parent Loop BB4_3 Depth=1
                                        ;     Parent Loop BB4_298 Depth=2
                                        ; =>    This Inner Loop Header: Depth=3
	s_wait_xcnt 0x0
	s_add_nc_u64 s[30:31], s[2:3], s[22:23]
	s_add_nc_u64 s[22:23], s[22:23], 1
	global_load_u8 v0, v1, s[30:31]
	s_cmp_lg_u32 s28, s22
	s_wait_loadcnt 0x0
	v_and_b32_e32 v0, 0xffff, v0
	s_delay_alu instid0(VALU_DEP_1) | instskip(SKIP_1) | instid1(VALU_DEP_1)
	v_lshlrev_b64_e32 v[16:17], s20, v[0:1]
	s_add_nc_u64 s[20:21], s[20:21], 8
	v_or_b32_e32 v28, v16, v28
	s_delay_alu instid0(VALU_DEP_2)
	v_or_b32_e32 v29, v17, v29
	s_cbranch_scc1 .LBB4_308
.LBB4_309:                              ;   in Loop: Header=BB4_298 Depth=2
	s_wait_xcnt 0x0
	s_mov_b64 s[20:21], s[2:3]
	s_mov_b32 s29, 0
	s_cbranch_execz .LBB4_311
	s_branch .LBB4_312
.LBB4_310:                              ;   in Loop: Header=BB4_298 Depth=2
	s_add_nc_u64 s[20:21], s[2:3], 8
	s_wait_xcnt 0x0
                                        ; implicit-def: $vgpr28_vgpr29
	s_mov_b32 s29, 0
.LBB4_311:                              ;   in Loop: Header=BB4_298 Depth=2
	global_load_b64 v[28:29], v1, s[2:3]
	s_add_co_i32 s29, s28, -8
.LBB4_312:                              ;   in Loop: Header=BB4_298 Depth=2
	s_delay_alu instid0(SALU_CYCLE_1)
	s_cmp_gt_u32 s29, 7
	s_cbranch_scc1 .LBB4_317
; %bb.313:                              ;   in Loop: Header=BB4_298 Depth=2
	v_mov_b64_e32 v[30:31], 0
	s_cmp_eq_u32 s29, 0
	s_cbranch_scc1 .LBB4_316
; %bb.314:                              ;   in Loop: Header=BB4_298 Depth=2
	s_wait_xcnt 0x0
	s_mov_b64 s[2:3], 0
	s_mov_b64 s[22:23], 0
.LBB4_315:                              ;   Parent Loop BB4_3 Depth=1
                                        ;     Parent Loop BB4_298 Depth=2
                                        ; =>    This Inner Loop Header: Depth=3
	s_wait_xcnt 0x0
	s_add_nc_u64 s[30:31], s[20:21], s[22:23]
	s_add_nc_u64 s[22:23], s[22:23], 1
	global_load_u8 v0, v1, s[30:31]
	s_cmp_lg_u32 s29, s22
	s_wait_loadcnt 0x0
	v_and_b32_e32 v0, 0xffff, v0
	s_delay_alu instid0(VALU_DEP_1) | instskip(SKIP_1) | instid1(VALU_DEP_1)
	v_lshlrev_b64_e32 v[16:17], s2, v[0:1]
	s_add_nc_u64 s[2:3], s[2:3], 8
	v_or_b32_e32 v30, v16, v30
	s_delay_alu instid0(VALU_DEP_2)
	v_or_b32_e32 v31, v17, v31
	s_cbranch_scc1 .LBB4_315
.LBB4_316:                              ;   in Loop: Header=BB4_298 Depth=2
	s_wait_xcnt 0x0
	s_mov_b64 s[2:3], s[20:21]
	s_mov_b32 s28, 0
	s_cbranch_execz .LBB4_318
	s_branch .LBB4_319
.LBB4_317:                              ;   in Loop: Header=BB4_298 Depth=2
	s_wait_xcnt 0x0
	s_add_nc_u64 s[2:3], s[20:21], 8
	s_mov_b32 s28, 0
.LBB4_318:                              ;   in Loop: Header=BB4_298 Depth=2
	global_load_b64 v[30:31], v1, s[20:21]
	s_add_co_i32 s28, s29, -8
.LBB4_319:                              ;   in Loop: Header=BB4_298 Depth=2
	s_delay_alu instid0(SALU_CYCLE_1)
	s_cmp_gt_u32 s28, 7
	s_cbranch_scc1 .LBB4_324
; %bb.320:                              ;   in Loop: Header=BB4_298 Depth=2
	v_mov_b64_e32 v[32:33], 0
	s_cmp_eq_u32 s28, 0
	s_cbranch_scc1 .LBB4_323
; %bb.321:                              ;   in Loop: Header=BB4_298 Depth=2
	s_wait_xcnt 0x0
	s_mov_b64 s[20:21], 0
	s_mov_b64 s[22:23], 0
.LBB4_322:                              ;   Parent Loop BB4_3 Depth=1
                                        ;     Parent Loop BB4_298 Depth=2
                                        ; =>    This Inner Loop Header: Depth=3
	s_wait_xcnt 0x0
	s_add_nc_u64 s[30:31], s[2:3], s[22:23]
	s_add_nc_u64 s[22:23], s[22:23], 1
	global_load_u8 v0, v1, s[30:31]
	s_cmp_lg_u32 s28, s22
	s_wait_loadcnt 0x0
	v_and_b32_e32 v0, 0xffff, v0
	s_delay_alu instid0(VALU_DEP_1) | instskip(SKIP_1) | instid1(VALU_DEP_1)
	v_lshlrev_b64_e32 v[16:17], s20, v[0:1]
	s_add_nc_u64 s[20:21], s[20:21], 8
	v_or_b32_e32 v32, v16, v32
	s_delay_alu instid0(VALU_DEP_2)
	v_or_b32_e32 v33, v17, v33
	s_cbranch_scc1 .LBB4_322
.LBB4_323:                              ;   in Loop: Header=BB4_298 Depth=2
	s_wait_xcnt 0x0
	s_mov_b64 s[20:21], s[2:3]
	s_mov_b32 s29, 0
	s_cbranch_execz .LBB4_325
	s_branch .LBB4_326
.LBB4_324:                              ;   in Loop: Header=BB4_298 Depth=2
	s_wait_xcnt 0x0
	s_add_nc_u64 s[20:21], s[2:3], 8
                                        ; implicit-def: $vgpr32_vgpr33
	s_mov_b32 s29, 0
.LBB4_325:                              ;   in Loop: Header=BB4_298 Depth=2
	global_load_b64 v[32:33], v1, s[2:3]
	s_add_co_i32 s29, s28, -8
.LBB4_326:                              ;   in Loop: Header=BB4_298 Depth=2
	s_delay_alu instid0(SALU_CYCLE_1)
	s_cmp_gt_u32 s29, 7
	s_cbranch_scc1 .LBB4_331
; %bb.327:                              ;   in Loop: Header=BB4_298 Depth=2
	v_mov_b64_e32 v[34:35], 0
	s_cmp_eq_u32 s29, 0
	s_cbranch_scc1 .LBB4_330
; %bb.328:                              ;   in Loop: Header=BB4_298 Depth=2
	s_wait_xcnt 0x0
	s_mov_b64 s[2:3], 0
	s_mov_b64 s[22:23], 0
.LBB4_329:                              ;   Parent Loop BB4_3 Depth=1
                                        ;     Parent Loop BB4_298 Depth=2
                                        ; =>    This Inner Loop Header: Depth=3
	s_wait_xcnt 0x0
	s_add_nc_u64 s[30:31], s[20:21], s[22:23]
	s_add_nc_u64 s[22:23], s[22:23], 1
	global_load_u8 v0, v1, s[30:31]
	s_cmp_lg_u32 s29, s22
	s_wait_loadcnt 0x0
	v_and_b32_e32 v0, 0xffff, v0
	s_delay_alu instid0(VALU_DEP_1) | instskip(SKIP_1) | instid1(VALU_DEP_1)
	v_lshlrev_b64_e32 v[16:17], s2, v[0:1]
	s_add_nc_u64 s[2:3], s[2:3], 8
	v_or_b32_e32 v34, v16, v34
	s_delay_alu instid0(VALU_DEP_2)
	v_or_b32_e32 v35, v17, v35
	s_cbranch_scc1 .LBB4_329
.LBB4_330:                              ;   in Loop: Header=BB4_298 Depth=2
	s_wait_xcnt 0x0
	s_mov_b64 s[2:3], s[20:21]
	s_mov_b32 s28, 0
	s_cbranch_execz .LBB4_332
	s_branch .LBB4_333
.LBB4_331:                              ;   in Loop: Header=BB4_298 Depth=2
	s_wait_xcnt 0x0
	s_add_nc_u64 s[2:3], s[20:21], 8
	s_mov_b32 s28, 0
.LBB4_332:                              ;   in Loop: Header=BB4_298 Depth=2
	global_load_b64 v[34:35], v1, s[20:21]
	s_add_co_i32 s28, s29, -8
.LBB4_333:                              ;   in Loop: Header=BB4_298 Depth=2
	s_delay_alu instid0(SALU_CYCLE_1)
	s_cmp_gt_u32 s28, 7
	s_cbranch_scc1 .LBB4_338
; %bb.334:                              ;   in Loop: Header=BB4_298 Depth=2
	v_mov_b64_e32 v[36:37], 0
	s_cmp_eq_u32 s28, 0
	s_cbranch_scc1 .LBB4_337
; %bb.335:                              ;   in Loop: Header=BB4_298 Depth=2
	s_wait_xcnt 0x0
	s_mov_b64 s[20:21], 0
	s_mov_b64 s[22:23], 0
.LBB4_336:                              ;   Parent Loop BB4_3 Depth=1
                                        ;     Parent Loop BB4_298 Depth=2
                                        ; =>    This Inner Loop Header: Depth=3
	s_wait_xcnt 0x0
	s_add_nc_u64 s[30:31], s[2:3], s[22:23]
	s_add_nc_u64 s[22:23], s[22:23], 1
	global_load_u8 v0, v1, s[30:31]
	s_cmp_lg_u32 s28, s22
	s_wait_loadcnt 0x0
	v_and_b32_e32 v0, 0xffff, v0
	s_delay_alu instid0(VALU_DEP_1) | instskip(SKIP_1) | instid1(VALU_DEP_1)
	v_lshlrev_b64_e32 v[16:17], s20, v[0:1]
	s_add_nc_u64 s[20:21], s[20:21], 8
	v_or_b32_e32 v36, v16, v36
	s_delay_alu instid0(VALU_DEP_2)
	v_or_b32_e32 v37, v17, v37
	s_cbranch_scc1 .LBB4_336
.LBB4_337:                              ;   in Loop: Header=BB4_298 Depth=2
	s_wait_xcnt 0x0
	s_mov_b64 s[20:21], s[2:3]
	s_mov_b32 s29, 0
	s_cbranch_execz .LBB4_339
	s_branch .LBB4_340
.LBB4_338:                              ;   in Loop: Header=BB4_298 Depth=2
	s_wait_xcnt 0x0
	s_add_nc_u64 s[20:21], s[2:3], 8
                                        ; implicit-def: $vgpr36_vgpr37
	s_mov_b32 s29, 0
.LBB4_339:                              ;   in Loop: Header=BB4_298 Depth=2
	global_load_b64 v[36:37], v1, s[2:3]
	s_add_co_i32 s29, s28, -8
.LBB4_340:                              ;   in Loop: Header=BB4_298 Depth=2
	s_delay_alu instid0(SALU_CYCLE_1)
	s_cmp_gt_u32 s29, 7
	s_cbranch_scc1 .LBB4_345
; %bb.341:                              ;   in Loop: Header=BB4_298 Depth=2
	v_mov_b64_e32 v[38:39], 0
	s_cmp_eq_u32 s29, 0
	s_cbranch_scc1 .LBB4_344
; %bb.342:                              ;   in Loop: Header=BB4_298 Depth=2
	s_wait_xcnt 0x0
	s_mov_b64 s[2:3], 0
	s_mov_b64 s[22:23], s[20:21]
.LBB4_343:                              ;   Parent Loop BB4_3 Depth=1
                                        ;     Parent Loop BB4_298 Depth=2
                                        ; =>    This Inner Loop Header: Depth=3
	global_load_u8 v0, v1, s[22:23]
	s_add_co_i32 s29, s29, -1
	s_wait_xcnt 0x0
	s_add_nc_u64 s[22:23], s[22:23], 1
	s_cmp_lg_u32 s29, 0
	s_wait_loadcnt 0x0
	v_and_b32_e32 v0, 0xffff, v0
	s_delay_alu instid0(VALU_DEP_1) | instskip(SKIP_1) | instid1(VALU_DEP_1)
	v_lshlrev_b64_e32 v[16:17], s2, v[0:1]
	s_add_nc_u64 s[2:3], s[2:3], 8
	v_or_b32_e32 v38, v16, v38
	s_delay_alu instid0(VALU_DEP_2)
	v_or_b32_e32 v39, v17, v39
	s_cbranch_scc1 .LBB4_343
.LBB4_344:                              ;   in Loop: Header=BB4_298 Depth=2
	s_wait_xcnt 0x0
	s_cbranch_execz .LBB4_346
	s_branch .LBB4_347
.LBB4_345:                              ;   in Loop: Header=BB4_298 Depth=2
	s_wait_xcnt 0x0
.LBB4_346:                              ;   in Loop: Header=BB4_298 Depth=2
	global_load_b64 v[38:39], v1, s[20:21]
.LBB4_347:                              ;   in Loop: Header=BB4_298 Depth=2
	v_readfirstlane_b32 s2, v46
	v_mov_b64_e32 v[16:17], 0
	s_delay_alu instid0(VALU_DEP_2)
	v_cmp_eq_u32_e64 s2, s2, v46
	s_wait_xcnt 0x0
	s_and_saveexec_b32 s3, s2
	s_cbranch_execz .LBB4_353
; %bb.348:                              ;   in Loop: Header=BB4_298 Depth=2
	global_load_b64 v[42:43], v1, s[12:13] offset:24 scope:SCOPE_SYS
	s_wait_loadcnt 0x0
	global_inv scope:SCOPE_SYS
	s_clause 0x1
	global_load_b64 v[16:17], v1, s[12:13] offset:40
	global_load_b64 v[22:23], v1, s[12:13]
	s_mov_b32 s20, exec_lo
	s_wait_loadcnt 0x1
	v_and_b32_e32 v16, v16, v42
	v_and_b32_e32 v17, v17, v43
	s_delay_alu instid0(VALU_DEP_1) | instskip(SKIP_1) | instid1(VALU_DEP_1)
	v_mul_u64_e32 v[16:17], 24, v[16:17]
	s_wait_loadcnt 0x0
	v_add_nc_u64_e32 v[16:17], v[22:23], v[16:17]
	global_load_b64 v[40:41], v[16:17], off scope:SCOPE_SYS
	s_wait_xcnt 0x0
	s_wait_loadcnt 0x0
	global_atomic_cmpswap_b64 v[16:17], v1, v[40:43], s[12:13] offset:24 th:TH_ATOMIC_RETURN scope:SCOPE_SYS
	s_wait_loadcnt 0x0
	global_inv scope:SCOPE_SYS
	s_wait_xcnt 0x0
	v_cmpx_ne_u64_e64 v[16:17], v[42:43]
	s_cbranch_execz .LBB4_352
; %bb.349:                              ;   in Loop: Header=BB4_298 Depth=2
	s_mov_b32 s21, 0
.LBB4_350:                              ;   Parent Loop BB4_3 Depth=1
                                        ;     Parent Loop BB4_298 Depth=2
                                        ; =>    This Inner Loop Header: Depth=3
	s_sleep 1
	s_clause 0x1
	global_load_b64 v[22:23], v1, s[12:13] offset:40
	global_load_b64 v[40:41], v1, s[12:13]
	v_mov_b64_e32 v[42:43], v[16:17]
	s_wait_loadcnt 0x1
	s_delay_alu instid0(VALU_DEP_1) | instskip(SKIP_1) | instid1(VALU_DEP_1)
	v_and_b32_e32 v0, v22, v42
	s_wait_loadcnt 0x0
	v_mad_nc_u64_u32 v[16:17], v0, 24, v[40:41]
	s_delay_alu instid0(VALU_DEP_3) | instskip(NEXT) | instid1(VALU_DEP_1)
	v_and_b32_e32 v0, v23, v43
	v_mad_u32 v17, v0, 24, v17
	global_load_b64 v[40:41], v[16:17], off scope:SCOPE_SYS
	s_wait_xcnt 0x0
	s_wait_loadcnt 0x0
	global_atomic_cmpswap_b64 v[16:17], v1, v[40:43], s[12:13] offset:24 th:TH_ATOMIC_RETURN scope:SCOPE_SYS
	s_wait_loadcnt 0x0
	global_inv scope:SCOPE_SYS
	v_cmp_eq_u64_e32 vcc_lo, v[16:17], v[42:43]
	s_or_b32 s21, vcc_lo, s21
	s_wait_xcnt 0x0
	s_and_not1_b32 exec_lo, exec_lo, s21
	s_cbranch_execnz .LBB4_350
; %bb.351:                              ;   in Loop: Header=BB4_298 Depth=2
	s_or_b32 exec_lo, exec_lo, s21
.LBB4_352:                              ;   in Loop: Header=BB4_298 Depth=2
	s_delay_alu instid0(SALU_CYCLE_1)
	s_or_b32 exec_lo, exec_lo, s20
.LBB4_353:                              ;   in Loop: Header=BB4_298 Depth=2
	s_delay_alu instid0(SALU_CYCLE_1)
	s_or_b32 exec_lo, exec_lo, s3
	s_clause 0x1
	global_load_b64 v[22:23], v1, s[12:13] offset:40
	global_load_b128 v[40:43], v1, s[12:13]
	v_readfirstlane_b32 s20, v16
	v_readfirstlane_b32 s21, v17
	s_mov_b32 s3, exec_lo
	s_wait_loadcnt 0x1
	v_and_b32_e32 v22, s20, v22
	v_and_b32_e32 v23, s21, v23
	s_delay_alu instid0(VALU_DEP_1) | instskip(SKIP_1) | instid1(VALU_DEP_1)
	v_mul_u64_e32 v[16:17], 24, v[22:23]
	s_wait_loadcnt 0x0
	v_add_nc_u64_e32 v[16:17], v[40:41], v[16:17]
	s_wait_xcnt 0x0
	s_and_saveexec_b32 s22, s2
	s_cbranch_execz .LBB4_355
; %bb.354:                              ;   in Loop: Header=BB4_298 Depth=2
	v_mov_b32_e32 v0, s3
	global_store_b128 v[16:17], v[0:3], off offset:8
.LBB4_355:                              ;   in Loop: Header=BB4_298 Depth=2
	s_wait_xcnt 0x0
	s_or_b32 exec_lo, exec_lo, s22
	v_cmp_lt_u64_e64 vcc_lo, s[16:17], 57
	v_lshlrev_b64_e32 v[22:23], 12, v[22:23]
	v_and_b32_e32 v5, 0xffffff1f, v24
	s_lshl_b32 s3, s18, 2
	s_delay_alu instid0(SALU_CYCLE_1) | instskip(SKIP_1) | instid1(VALU_DEP_3)
	s_add_co_i32 s3, s3, 28
	v_cndmask_b32_e32 v0, 0, v6, vcc_lo
	v_add_nc_u64_e32 v[42:43], v[42:43], v[22:23]
	s_delay_alu instid0(VALU_DEP_2) | instskip(NEXT) | instid1(VALU_DEP_2)
	v_or_b32_e32 v0, v5, v0
	v_readfirstlane_b32 s22, v42
	s_delay_alu instid0(VALU_DEP_3) | instskip(NEXT) | instid1(VALU_DEP_3)
	v_readfirstlane_b32 s23, v43
	v_and_or_b32 v24, 0x1e0, s3, v0
	s_clause 0x3
	global_store_b128 v50, v[24:27], s[22:23]
	global_store_b128 v50, v[28:31], s[22:23] offset:16
	global_store_b128 v50, v[32:35], s[22:23] offset:32
	;; [unrolled: 1-line block ×3, first 2 shown]
	s_wait_xcnt 0x0
	s_and_saveexec_b32 s3, s2
	s_cbranch_execz .LBB4_363
; %bb.356:                              ;   in Loop: Header=BB4_298 Depth=2
	s_clause 0x1
	global_load_b64 v[30:31], v1, s[12:13] offset:32 scope:SCOPE_SYS
	global_load_b64 v[22:23], v1, s[12:13] offset:40
	s_mov_b32 s22, exec_lo
	v_dual_mov_b32 v28, s20 :: v_dual_mov_b32 v29, s21
	s_wait_loadcnt 0x0
	v_and_b32_e32 v23, s21, v23
	v_and_b32_e32 v22, s20, v22
	s_delay_alu instid0(VALU_DEP_1) | instskip(NEXT) | instid1(VALU_DEP_1)
	v_mul_u64_e32 v[22:23], 24, v[22:23]
	v_add_nc_u64_e32 v[26:27], v[40:41], v[22:23]
	global_store_b64 v[26:27], v[30:31], off
	global_wb scope:SCOPE_SYS
	s_wait_storecnt 0x0
	s_wait_xcnt 0x0
	global_atomic_cmpswap_b64 v[24:25], v1, v[28:31], s[12:13] offset:32 th:TH_ATOMIC_RETURN scope:SCOPE_SYS
	s_wait_loadcnt 0x0
	s_wait_xcnt 0x0
	v_cmpx_ne_u64_e64 v[24:25], v[30:31]
	s_cbranch_execz .LBB4_359
; %bb.357:                              ;   in Loop: Header=BB4_298 Depth=2
	s_mov_b32 s23, 0
.LBB4_358:                              ;   Parent Loop BB4_3 Depth=1
                                        ;     Parent Loop BB4_298 Depth=2
                                        ; =>    This Inner Loop Header: Depth=3
	v_dual_mov_b32 v22, s20 :: v_dual_mov_b32 v23, s21
	s_sleep 1
	global_store_b64 v[26:27], v[24:25], off
	global_wb scope:SCOPE_SYS
	s_wait_storecnt 0x0
	s_wait_xcnt 0x0
	global_atomic_cmpswap_b64 v[22:23], v1, v[22:25], s[12:13] offset:32 th:TH_ATOMIC_RETURN scope:SCOPE_SYS
	s_wait_loadcnt 0x0
	v_cmp_eq_u64_e32 vcc_lo, v[22:23], v[24:25]
	s_wait_xcnt 0x0
	v_mov_b64_e32 v[24:25], v[22:23]
	s_or_b32 s23, vcc_lo, s23
	s_delay_alu instid0(SALU_CYCLE_1)
	s_and_not1_b32 exec_lo, exec_lo, s23
	s_cbranch_execnz .LBB4_358
.LBB4_359:                              ;   in Loop: Header=BB4_298 Depth=2
	s_or_b32 exec_lo, exec_lo, s22
	global_load_b64 v[22:23], v1, s[12:13] offset:16
	s_mov_b32 s23, exec_lo
	s_mov_b32 s22, exec_lo
	v_mbcnt_lo_u32_b32 v0, s23, 0
	s_wait_xcnt 0x0
	s_delay_alu instid0(VALU_DEP_1)
	v_cmpx_eq_u32_e32 0, v0
	s_cbranch_execz .LBB4_361
; %bb.360:                              ;   in Loop: Header=BB4_298 Depth=2
	s_bcnt1_i32_b32 s23, s23
	s_delay_alu instid0(SALU_CYCLE_1)
	v_mov_b32_e32 v0, s23
	global_wb scope:SCOPE_SYS
	s_wait_loadcnt 0x0
	s_wait_storecnt 0x0
	global_atomic_add_u64 v[22:23], v[0:1], off offset:8 scope:SCOPE_SYS
.LBB4_361:                              ;   in Loop: Header=BB4_298 Depth=2
	s_wait_xcnt 0x0
	s_or_b32 exec_lo, exec_lo, s22
	s_wait_loadcnt 0x0
	global_load_b64 v[24:25], v[22:23], off offset:16
	s_wait_loadcnt 0x0
	v_cmp_eq_u64_e32 vcc_lo, 0, v[24:25]
	s_cbranch_vccnz .LBB4_363
; %bb.362:                              ;   in Loop: Header=BB4_298 Depth=2
	global_load_b32 v0, v[22:23], off offset:24
	s_wait_loadcnt 0x0
	v_readfirstlane_b32 s22, v0
	global_wb scope:SCOPE_SYS
	s_wait_storecnt 0x0
	s_wait_xcnt 0x0
	global_store_b64 v[24:25], v[0:1], off scope:SCOPE_SYS
	s_and_b32 m0, s22, 0xffffff
	s_sendmsg sendmsg(MSG_INTERRUPT)
.LBB4_363:                              ;   in Loop: Header=BB4_298 Depth=2
	s_wait_xcnt 0x0
	s_or_b32 exec_lo, exec_lo, s3
	v_mov_b32_e32 v51, v1
	s_delay_alu instid0(VALU_DEP_1)
	v_add_nc_u64_e32 v[22:23], v[42:43], v[50:51]
	s_branch .LBB4_367
.LBB4_364:                              ;   in Loop: Header=BB4_367 Depth=3
	s_wait_xcnt 0x0
	s_or_b32 exec_lo, exec_lo, s3
	s_delay_alu instid0(VALU_DEP_1)
	v_readfirstlane_b32 s3, v0
	s_cmp_eq_u32 s3, 0
	s_cbranch_scc1 .LBB4_366
; %bb.365:                              ;   in Loop: Header=BB4_367 Depth=3
	s_sleep 1
	s_cbranch_execnz .LBB4_367
	s_branch .LBB4_369
.LBB4_366:                              ;   in Loop: Header=BB4_298 Depth=2
	s_branch .LBB4_369
.LBB4_367:                              ;   Parent Loop BB4_3 Depth=1
                                        ;     Parent Loop BB4_298 Depth=2
                                        ; =>    This Inner Loop Header: Depth=3
	v_mov_b32_e32 v0, 1
	s_and_saveexec_b32 s3, s2
	s_cbranch_execz .LBB4_364
; %bb.368:                              ;   in Loop: Header=BB4_367 Depth=3
	global_load_b32 v0, v[16:17], off offset:20 scope:SCOPE_SYS
	s_wait_loadcnt 0x0
	global_inv scope:SCOPE_SYS
	v_and_b32_e32 v0, 1, v0
	s_branch .LBB4_364
.LBB4_369:                              ;   in Loop: Header=BB4_298 Depth=2
	global_load_b64 v[24:25], v[22:23], off
	s_wait_xcnt 0x0
	s_and_saveexec_b32 s22, s2
	s_cbranch_execz .LBB4_297
; %bb.370:                              ;   in Loop: Header=BB4_298 Depth=2
	s_clause 0x2
	global_load_b64 v[16:17], v1, s[12:13] offset:40
	global_load_b64 v[30:31], v1, s[12:13] offset:24 scope:SCOPE_SYS
	global_load_b64 v[22:23], v1, s[12:13]
	s_wait_loadcnt 0x2
	v_readfirstlane_b32 s28, v16
	v_readfirstlane_b32 s29, v17
	s_add_nc_u64 s[2:3], s[28:29], 1
	s_delay_alu instid0(SALU_CYCLE_1) | instskip(NEXT) | instid1(SALU_CYCLE_1)
	s_add_nc_u64 s[20:21], s[2:3], s[20:21]
	s_cmp_eq_u64 s[20:21], 0
	s_cselect_b32 s3, s3, s21
	s_cselect_b32 s2, s2, s20
	s_delay_alu instid0(SALU_CYCLE_1) | instskip(SKIP_1) | instid1(SALU_CYCLE_1)
	v_dual_mov_b32 v29, s3 :: v_dual_mov_b32 v28, s2
	s_and_b64 s[20:21], s[2:3], s[28:29]
	s_mul_u64 s[20:21], s[20:21], 24
	s_wait_loadcnt 0x0
	v_add_nc_u64_e32 v[16:17], s[20:21], v[22:23]
	global_store_b64 v[16:17], v[30:31], off
	global_wb scope:SCOPE_SYS
	s_wait_storecnt 0x0
	s_wait_xcnt 0x0
	global_atomic_cmpswap_b64 v[28:29], v1, v[28:31], s[12:13] offset:24 th:TH_ATOMIC_RETURN scope:SCOPE_SYS
	s_wait_loadcnt 0x0
	v_cmp_ne_u64_e32 vcc_lo, v[28:29], v[30:31]
	s_wait_xcnt 0x0
	s_and_b32 exec_lo, exec_lo, vcc_lo
	s_cbranch_execz .LBB4_297
; %bb.371:                              ;   in Loop: Header=BB4_298 Depth=2
	s_mov_b32 s20, 0
.LBB4_372:                              ;   Parent Loop BB4_3 Depth=1
                                        ;     Parent Loop BB4_298 Depth=2
                                        ; =>    This Inner Loop Header: Depth=3
	v_dual_mov_b32 v26, s2 :: v_dual_mov_b32 v27, s3
	s_sleep 1
	global_store_b64 v[16:17], v[28:29], off
	global_wb scope:SCOPE_SYS
	s_wait_storecnt 0x0
	s_wait_xcnt 0x0
	global_atomic_cmpswap_b64 v[22:23], v1, v[26:29], s[12:13] offset:24 th:TH_ATOMIC_RETURN scope:SCOPE_SYS
	s_wait_loadcnt 0x0
	v_cmp_eq_u64_e32 vcc_lo, v[22:23], v[28:29]
	s_wait_xcnt 0x0
	v_mov_b64_e32 v[28:29], v[22:23]
	s_or_b32 s20, vcc_lo, s20
	s_delay_alu instid0(SALU_CYCLE_1)
	s_and_not1_b32 exec_lo, exec_lo, s20
	s_cbranch_execnz .LBB4_372
	s_branch .LBB4_297
.LBB4_373:                              ;   in Loop: Header=BB4_3 Depth=1
.LBB4_374:                              ;   in Loop: Header=BB4_3 Depth=1
	s_and_b32 vcc_lo, exec_lo, s26
	s_cbranch_vccz .LBB4_481
.LBB4_375:                              ;   in Loop: Header=BB4_3 Depth=1
	s_wait_loadcnt 0x0
	v_dual_mov_b32 v21, v25 :: v_dual_bitop2_b32 v6, 2, v24 bitop3:0x40
	v_and_b32_e32 v20, -3, v24
	s_mov_b64 s[16:17], 45
	s_get_pc_i64 s[14:15]
	s_add_nc_u64 s[14:15], s[14:15], .str.6@rel64+4
	s_branch .LBB4_377
.LBB4_376:                              ;   in Loop: Header=BB4_377 Depth=2
	s_or_b32 exec_lo, exec_lo, s22
	s_sub_nc_u64 s[16:17], s[16:17], s[18:19]
	s_add_nc_u64 s[14:15], s[14:15], s[18:19]
	s_cmp_lg_u64 s[16:17], 0
	s_cbranch_scc0 .LBB4_452
.LBB4_377:                              ;   Parent Loop BB4_3 Depth=1
                                        ; =>  This Loop Header: Depth=2
                                        ;       Child Loop BB4_380 Depth 3
                                        ;       Child Loop BB4_387 Depth 3
	;; [unrolled: 1-line block ×11, first 2 shown]
	v_min_u64 v[16:17], s[16:17], 56
	v_cmp_gt_u64_e64 s2, s[16:17], 7
	s_and_b32 vcc_lo, exec_lo, s2
	v_readfirstlane_b32 s18, v16
	v_readfirstlane_b32 s19, v17
	s_cbranch_vccnz .LBB4_382
; %bb.378:                              ;   in Loop: Header=BB4_377 Depth=2
	v_mov_b64_e32 v[22:23], 0
	s_cmp_eq_u64 s[16:17], 0
	s_cbranch_scc1 .LBB4_381
; %bb.379:                              ;   in Loop: Header=BB4_377 Depth=2
	s_mov_b64 s[2:3], 0
	s_mov_b64 s[20:21], 0
.LBB4_380:                              ;   Parent Loop BB4_3 Depth=1
                                        ;     Parent Loop BB4_377 Depth=2
                                        ; =>    This Inner Loop Header: Depth=3
	s_wait_xcnt 0x0
	s_add_nc_u64 s[22:23], s[14:15], s[20:21]
	s_add_nc_u64 s[20:21], s[20:21], 1
	global_load_u8 v0, v1, s[22:23]
	s_cmp_lg_u32 s18, s20
	s_wait_loadcnt 0x0
	v_and_b32_e32 v0, 0xffff, v0
	s_delay_alu instid0(VALU_DEP_1) | instskip(SKIP_1) | instid1(VALU_DEP_1)
	v_lshlrev_b64_e32 v[16:17], s2, v[0:1]
	s_add_nc_u64 s[2:3], s[2:3], 8
	v_or_b32_e32 v22, v16, v22
	s_delay_alu instid0(VALU_DEP_2)
	v_or_b32_e32 v23, v17, v23
	s_cbranch_scc1 .LBB4_380
.LBB4_381:                              ;   in Loop: Header=BB4_377 Depth=2
	s_mov_b64 s[2:3], s[14:15]
	s_mov_b32 s28, 0
	s_cbranch_execz .LBB4_383
	s_branch .LBB4_384
.LBB4_382:                              ;   in Loop: Header=BB4_377 Depth=2
	s_add_nc_u64 s[2:3], s[14:15], 8
	s_mov_b32 s28, 0
.LBB4_383:                              ;   in Loop: Header=BB4_377 Depth=2
	global_load_b64 v[22:23], v1, s[14:15]
	s_add_co_i32 s28, s18, -8
.LBB4_384:                              ;   in Loop: Header=BB4_377 Depth=2
	s_delay_alu instid0(SALU_CYCLE_1)
	s_cmp_gt_u32 s28, 7
	s_cbranch_scc1 .LBB4_389
; %bb.385:                              ;   in Loop: Header=BB4_377 Depth=2
	v_mov_b64_e32 v[26:27], 0
	s_cmp_eq_u32 s28, 0
	s_cbranch_scc1 .LBB4_388
; %bb.386:                              ;   in Loop: Header=BB4_377 Depth=2
	s_mov_b64 s[20:21], 0
	s_wait_xcnt 0x0
	s_mov_b64 s[22:23], 0
.LBB4_387:                              ;   Parent Loop BB4_3 Depth=1
                                        ;     Parent Loop BB4_377 Depth=2
                                        ; =>    This Inner Loop Header: Depth=3
	s_wait_xcnt 0x0
	s_add_nc_u64 s[30:31], s[2:3], s[22:23]
	s_add_nc_u64 s[22:23], s[22:23], 1
	global_load_u8 v0, v1, s[30:31]
	s_cmp_lg_u32 s28, s22
	s_wait_loadcnt 0x0
	v_and_b32_e32 v0, 0xffff, v0
	s_delay_alu instid0(VALU_DEP_1) | instskip(SKIP_1) | instid1(VALU_DEP_1)
	v_lshlrev_b64_e32 v[16:17], s20, v[0:1]
	s_add_nc_u64 s[20:21], s[20:21], 8
	v_or_b32_e32 v26, v16, v26
	s_delay_alu instid0(VALU_DEP_2)
	v_or_b32_e32 v27, v17, v27
	s_cbranch_scc1 .LBB4_387
.LBB4_388:                              ;   in Loop: Header=BB4_377 Depth=2
	s_wait_xcnt 0x0
	s_mov_b64 s[20:21], s[2:3]
	s_mov_b32 s29, 0
	s_cbranch_execz .LBB4_390
	s_branch .LBB4_391
.LBB4_389:                              ;   in Loop: Header=BB4_377 Depth=2
	s_add_nc_u64 s[20:21], s[2:3], 8
	s_wait_xcnt 0x0
                                        ; implicit-def: $vgpr26_vgpr27
	s_mov_b32 s29, 0
.LBB4_390:                              ;   in Loop: Header=BB4_377 Depth=2
	global_load_b64 v[26:27], v1, s[2:3]
	s_add_co_i32 s29, s28, -8
.LBB4_391:                              ;   in Loop: Header=BB4_377 Depth=2
	s_delay_alu instid0(SALU_CYCLE_1)
	s_cmp_gt_u32 s29, 7
	s_cbranch_scc1 .LBB4_396
; %bb.392:                              ;   in Loop: Header=BB4_377 Depth=2
	v_mov_b64_e32 v[28:29], 0
	s_cmp_eq_u32 s29, 0
	s_cbranch_scc1 .LBB4_395
; %bb.393:                              ;   in Loop: Header=BB4_377 Depth=2
	s_wait_xcnt 0x0
	s_mov_b64 s[2:3], 0
	s_mov_b64 s[22:23], 0
.LBB4_394:                              ;   Parent Loop BB4_3 Depth=1
                                        ;     Parent Loop BB4_377 Depth=2
                                        ; =>    This Inner Loop Header: Depth=3
	s_wait_xcnt 0x0
	s_add_nc_u64 s[30:31], s[20:21], s[22:23]
	s_add_nc_u64 s[22:23], s[22:23], 1
	global_load_u8 v0, v1, s[30:31]
	s_cmp_lg_u32 s29, s22
	s_wait_loadcnt 0x0
	v_and_b32_e32 v0, 0xffff, v0
	s_delay_alu instid0(VALU_DEP_1) | instskip(SKIP_1) | instid1(VALU_DEP_1)
	v_lshlrev_b64_e32 v[16:17], s2, v[0:1]
	s_add_nc_u64 s[2:3], s[2:3], 8
	v_or_b32_e32 v28, v16, v28
	s_delay_alu instid0(VALU_DEP_2)
	v_or_b32_e32 v29, v17, v29
	s_cbranch_scc1 .LBB4_394
.LBB4_395:                              ;   in Loop: Header=BB4_377 Depth=2
	s_wait_xcnt 0x0
	s_mov_b64 s[2:3], s[20:21]
	s_mov_b32 s28, 0
	s_cbranch_execz .LBB4_397
	s_branch .LBB4_398
.LBB4_396:                              ;   in Loop: Header=BB4_377 Depth=2
	s_wait_xcnt 0x0
	s_add_nc_u64 s[2:3], s[20:21], 8
	s_mov_b32 s28, 0
.LBB4_397:                              ;   in Loop: Header=BB4_377 Depth=2
	global_load_b64 v[28:29], v1, s[20:21]
	s_add_co_i32 s28, s29, -8
.LBB4_398:                              ;   in Loop: Header=BB4_377 Depth=2
	s_delay_alu instid0(SALU_CYCLE_1)
	s_cmp_gt_u32 s28, 7
	s_cbranch_scc1 .LBB4_403
; %bb.399:                              ;   in Loop: Header=BB4_377 Depth=2
	v_mov_b64_e32 v[30:31], 0
	s_cmp_eq_u32 s28, 0
	s_cbranch_scc1 .LBB4_402
; %bb.400:                              ;   in Loop: Header=BB4_377 Depth=2
	s_wait_xcnt 0x0
	s_mov_b64 s[20:21], 0
	s_mov_b64 s[22:23], 0
.LBB4_401:                              ;   Parent Loop BB4_3 Depth=1
                                        ;     Parent Loop BB4_377 Depth=2
                                        ; =>    This Inner Loop Header: Depth=3
	s_wait_xcnt 0x0
	s_add_nc_u64 s[30:31], s[2:3], s[22:23]
	s_add_nc_u64 s[22:23], s[22:23], 1
	global_load_u8 v0, v1, s[30:31]
	s_cmp_lg_u32 s28, s22
	s_wait_loadcnt 0x0
	v_and_b32_e32 v0, 0xffff, v0
	s_delay_alu instid0(VALU_DEP_1) | instskip(SKIP_1) | instid1(VALU_DEP_1)
	v_lshlrev_b64_e32 v[16:17], s20, v[0:1]
	s_add_nc_u64 s[20:21], s[20:21], 8
	v_or_b32_e32 v30, v16, v30
	s_delay_alu instid0(VALU_DEP_2)
	v_or_b32_e32 v31, v17, v31
	s_cbranch_scc1 .LBB4_401
.LBB4_402:                              ;   in Loop: Header=BB4_377 Depth=2
	s_wait_xcnt 0x0
	s_mov_b64 s[20:21], s[2:3]
	s_mov_b32 s29, 0
	s_cbranch_execz .LBB4_404
	s_branch .LBB4_405
.LBB4_403:                              ;   in Loop: Header=BB4_377 Depth=2
	s_wait_xcnt 0x0
	s_add_nc_u64 s[20:21], s[2:3], 8
                                        ; implicit-def: $vgpr30_vgpr31
	s_mov_b32 s29, 0
.LBB4_404:                              ;   in Loop: Header=BB4_377 Depth=2
	global_load_b64 v[30:31], v1, s[2:3]
	s_add_co_i32 s29, s28, -8
.LBB4_405:                              ;   in Loop: Header=BB4_377 Depth=2
	s_delay_alu instid0(SALU_CYCLE_1)
	s_cmp_gt_u32 s29, 7
	s_cbranch_scc1 .LBB4_410
; %bb.406:                              ;   in Loop: Header=BB4_377 Depth=2
	v_mov_b64_e32 v[32:33], 0
	s_cmp_eq_u32 s29, 0
	s_cbranch_scc1 .LBB4_409
; %bb.407:                              ;   in Loop: Header=BB4_377 Depth=2
	s_wait_xcnt 0x0
	s_mov_b64 s[2:3], 0
	s_mov_b64 s[22:23], 0
.LBB4_408:                              ;   Parent Loop BB4_3 Depth=1
                                        ;     Parent Loop BB4_377 Depth=2
                                        ; =>    This Inner Loop Header: Depth=3
	s_wait_xcnt 0x0
	s_add_nc_u64 s[30:31], s[20:21], s[22:23]
	s_add_nc_u64 s[22:23], s[22:23], 1
	global_load_u8 v0, v1, s[30:31]
	s_cmp_lg_u32 s29, s22
	s_wait_loadcnt 0x0
	v_and_b32_e32 v0, 0xffff, v0
	s_delay_alu instid0(VALU_DEP_1) | instskip(SKIP_1) | instid1(VALU_DEP_1)
	v_lshlrev_b64_e32 v[16:17], s2, v[0:1]
	s_add_nc_u64 s[2:3], s[2:3], 8
	v_or_b32_e32 v32, v16, v32
	s_delay_alu instid0(VALU_DEP_2)
	v_or_b32_e32 v33, v17, v33
	s_cbranch_scc1 .LBB4_408
.LBB4_409:                              ;   in Loop: Header=BB4_377 Depth=2
	s_wait_xcnt 0x0
	s_mov_b64 s[2:3], s[20:21]
	s_mov_b32 s28, 0
	s_cbranch_execz .LBB4_411
	s_branch .LBB4_412
.LBB4_410:                              ;   in Loop: Header=BB4_377 Depth=2
	s_wait_xcnt 0x0
	s_add_nc_u64 s[2:3], s[20:21], 8
	s_mov_b32 s28, 0
.LBB4_411:                              ;   in Loop: Header=BB4_377 Depth=2
	global_load_b64 v[32:33], v1, s[20:21]
	s_add_co_i32 s28, s29, -8
.LBB4_412:                              ;   in Loop: Header=BB4_377 Depth=2
	s_delay_alu instid0(SALU_CYCLE_1)
	s_cmp_gt_u32 s28, 7
	s_cbranch_scc1 .LBB4_417
; %bb.413:                              ;   in Loop: Header=BB4_377 Depth=2
	v_mov_b64_e32 v[34:35], 0
	s_cmp_eq_u32 s28, 0
	s_cbranch_scc1 .LBB4_416
; %bb.414:                              ;   in Loop: Header=BB4_377 Depth=2
	s_wait_xcnt 0x0
	s_mov_b64 s[20:21], 0
	s_mov_b64 s[22:23], 0
.LBB4_415:                              ;   Parent Loop BB4_3 Depth=1
                                        ;     Parent Loop BB4_377 Depth=2
                                        ; =>    This Inner Loop Header: Depth=3
	s_wait_xcnt 0x0
	s_add_nc_u64 s[30:31], s[2:3], s[22:23]
	s_add_nc_u64 s[22:23], s[22:23], 1
	global_load_u8 v0, v1, s[30:31]
	s_cmp_lg_u32 s28, s22
	s_wait_loadcnt 0x0
	v_and_b32_e32 v0, 0xffff, v0
	s_delay_alu instid0(VALU_DEP_1) | instskip(SKIP_1) | instid1(VALU_DEP_1)
	v_lshlrev_b64_e32 v[16:17], s20, v[0:1]
	s_add_nc_u64 s[20:21], s[20:21], 8
	v_or_b32_e32 v34, v16, v34
	s_delay_alu instid0(VALU_DEP_2)
	v_or_b32_e32 v35, v17, v35
	s_cbranch_scc1 .LBB4_415
.LBB4_416:                              ;   in Loop: Header=BB4_377 Depth=2
	s_wait_xcnt 0x0
	s_mov_b64 s[20:21], s[2:3]
	s_mov_b32 s29, 0
	s_cbranch_execz .LBB4_418
	s_branch .LBB4_419
.LBB4_417:                              ;   in Loop: Header=BB4_377 Depth=2
	s_wait_xcnt 0x0
	s_add_nc_u64 s[20:21], s[2:3], 8
                                        ; implicit-def: $vgpr34_vgpr35
	s_mov_b32 s29, 0
.LBB4_418:                              ;   in Loop: Header=BB4_377 Depth=2
	global_load_b64 v[34:35], v1, s[2:3]
	s_add_co_i32 s29, s28, -8
.LBB4_419:                              ;   in Loop: Header=BB4_377 Depth=2
	s_delay_alu instid0(SALU_CYCLE_1)
	s_cmp_gt_u32 s29, 7
	s_cbranch_scc1 .LBB4_424
; %bb.420:                              ;   in Loop: Header=BB4_377 Depth=2
	v_mov_b64_e32 v[36:37], 0
	s_cmp_eq_u32 s29, 0
	s_cbranch_scc1 .LBB4_423
; %bb.421:                              ;   in Loop: Header=BB4_377 Depth=2
	s_wait_xcnt 0x0
	s_mov_b64 s[2:3], 0
	s_mov_b64 s[22:23], s[20:21]
.LBB4_422:                              ;   Parent Loop BB4_3 Depth=1
                                        ;     Parent Loop BB4_377 Depth=2
                                        ; =>    This Inner Loop Header: Depth=3
	global_load_u8 v0, v1, s[22:23]
	s_add_co_i32 s29, s29, -1
	s_wait_xcnt 0x0
	s_add_nc_u64 s[22:23], s[22:23], 1
	s_cmp_lg_u32 s29, 0
	s_wait_loadcnt 0x0
	v_and_b32_e32 v0, 0xffff, v0
	s_delay_alu instid0(VALU_DEP_1) | instskip(SKIP_1) | instid1(VALU_DEP_1)
	v_lshlrev_b64_e32 v[16:17], s2, v[0:1]
	s_add_nc_u64 s[2:3], s[2:3], 8
	v_or_b32_e32 v36, v16, v36
	s_delay_alu instid0(VALU_DEP_2)
	v_or_b32_e32 v37, v17, v37
	s_cbranch_scc1 .LBB4_422
.LBB4_423:                              ;   in Loop: Header=BB4_377 Depth=2
	s_wait_xcnt 0x0
	s_cbranch_execz .LBB4_425
	s_branch .LBB4_426
.LBB4_424:                              ;   in Loop: Header=BB4_377 Depth=2
	s_wait_xcnt 0x0
.LBB4_425:                              ;   in Loop: Header=BB4_377 Depth=2
	global_load_b64 v[36:37], v1, s[20:21]
.LBB4_426:                              ;   in Loop: Header=BB4_377 Depth=2
	v_readfirstlane_b32 s2, v46
	v_mov_b64_e32 v[16:17], 0
	s_delay_alu instid0(VALU_DEP_2)
	v_cmp_eq_u32_e64 s2, s2, v46
	s_wait_xcnt 0x0
	s_and_saveexec_b32 s3, s2
	s_cbranch_execz .LBB4_432
; %bb.427:                              ;   in Loop: Header=BB4_377 Depth=2
	global_load_b64 v[40:41], v1, s[12:13] offset:24 scope:SCOPE_SYS
	s_wait_loadcnt 0x0
	global_inv scope:SCOPE_SYS
	s_clause 0x1
	global_load_b64 v[16:17], v1, s[12:13] offset:40
	global_load_b64 v[38:39], v1, s[12:13]
	s_mov_b32 s20, exec_lo
	s_wait_loadcnt 0x1
	v_and_b32_e32 v16, v16, v40
	v_and_b32_e32 v17, v17, v41
	s_delay_alu instid0(VALU_DEP_1) | instskip(SKIP_1) | instid1(VALU_DEP_1)
	v_mul_u64_e32 v[16:17], 24, v[16:17]
	s_wait_loadcnt 0x0
	v_add_nc_u64_e32 v[16:17], v[38:39], v[16:17]
	global_load_b64 v[38:39], v[16:17], off scope:SCOPE_SYS
	s_wait_xcnt 0x0
	s_wait_loadcnt 0x0
	global_atomic_cmpswap_b64 v[16:17], v1, v[38:41], s[12:13] offset:24 th:TH_ATOMIC_RETURN scope:SCOPE_SYS
	s_wait_loadcnt 0x0
	global_inv scope:SCOPE_SYS
	s_wait_xcnt 0x0
	v_cmpx_ne_u64_e64 v[16:17], v[40:41]
	s_cbranch_execz .LBB4_431
; %bb.428:                              ;   in Loop: Header=BB4_377 Depth=2
	s_mov_b32 s21, 0
.LBB4_429:                              ;   Parent Loop BB4_3 Depth=1
                                        ;     Parent Loop BB4_377 Depth=2
                                        ; =>    This Inner Loop Header: Depth=3
	s_sleep 1
	s_clause 0x1
	global_load_b64 v[38:39], v1, s[12:13] offset:40
	global_load_b64 v[42:43], v1, s[12:13]
	v_mov_b64_e32 v[40:41], v[16:17]
	s_wait_loadcnt 0x1
	s_delay_alu instid0(VALU_DEP_1) | instskip(SKIP_1) | instid1(VALU_DEP_1)
	v_and_b32_e32 v0, v38, v40
	s_wait_loadcnt 0x0
	v_mad_nc_u64_u32 v[16:17], v0, 24, v[42:43]
	s_delay_alu instid0(VALU_DEP_3) | instskip(NEXT) | instid1(VALU_DEP_1)
	v_and_b32_e32 v0, v39, v41
	v_mad_u32 v17, v0, 24, v17
	global_load_b64 v[38:39], v[16:17], off scope:SCOPE_SYS
	s_wait_xcnt 0x0
	s_wait_loadcnt 0x0
	global_atomic_cmpswap_b64 v[16:17], v1, v[38:41], s[12:13] offset:24 th:TH_ATOMIC_RETURN scope:SCOPE_SYS
	s_wait_loadcnt 0x0
	global_inv scope:SCOPE_SYS
	v_cmp_eq_u64_e32 vcc_lo, v[16:17], v[40:41]
	s_or_b32 s21, vcc_lo, s21
	s_wait_xcnt 0x0
	s_and_not1_b32 exec_lo, exec_lo, s21
	s_cbranch_execnz .LBB4_429
; %bb.430:                              ;   in Loop: Header=BB4_377 Depth=2
	s_or_b32 exec_lo, exec_lo, s21
.LBB4_431:                              ;   in Loop: Header=BB4_377 Depth=2
	s_delay_alu instid0(SALU_CYCLE_1)
	s_or_b32 exec_lo, exec_lo, s20
.LBB4_432:                              ;   in Loop: Header=BB4_377 Depth=2
	s_delay_alu instid0(SALU_CYCLE_1)
	s_or_b32 exec_lo, exec_lo, s3
	s_clause 0x1
	global_load_b64 v[42:43], v1, s[12:13] offset:40
	global_load_b128 v[38:41], v1, s[12:13]
	v_readfirstlane_b32 s20, v16
	v_readfirstlane_b32 s21, v17
	s_mov_b32 s3, exec_lo
	s_wait_loadcnt 0x1
	v_and_b32_e32 v42, s20, v42
	v_and_b32_e32 v43, s21, v43
	s_delay_alu instid0(VALU_DEP_1) | instskip(SKIP_1) | instid1(VALU_DEP_1)
	v_mul_u64_e32 v[16:17], 24, v[42:43]
	s_wait_loadcnt 0x0
	v_add_nc_u64_e32 v[16:17], v[38:39], v[16:17]
	s_wait_xcnt 0x0
	s_and_saveexec_b32 s22, s2
	s_cbranch_execz .LBB4_434
; %bb.433:                              ;   in Loop: Header=BB4_377 Depth=2
	v_mov_b32_e32 v0, s3
	global_store_b128 v[16:17], v[0:3], off offset:8
.LBB4_434:                              ;   in Loop: Header=BB4_377 Depth=2
	s_wait_xcnt 0x0
	s_or_b32 exec_lo, exec_lo, s22
	v_cmp_lt_u64_e64 vcc_lo, s[16:17], 57
	v_lshlrev_b64_e32 v[42:43], 12, v[42:43]
	v_and_b32_e32 v5, 0xffffff1f, v20
	s_lshl_b32 s3, s18, 2
	s_delay_alu instid0(SALU_CYCLE_1) | instskip(SKIP_1) | instid1(VALU_DEP_3)
	s_add_co_i32 s3, s3, 28
	v_cndmask_b32_e32 v0, 0, v6, vcc_lo
	v_add_nc_u64_e32 v[40:41], v[40:41], v[42:43]
	s_delay_alu instid0(VALU_DEP_2) | instskip(NEXT) | instid1(VALU_DEP_2)
	v_or_b32_e32 v0, v5, v0
	v_readfirstlane_b32 s22, v40
	s_delay_alu instid0(VALU_DEP_3) | instskip(NEXT) | instid1(VALU_DEP_3)
	v_readfirstlane_b32 s23, v41
	v_and_or_b32 v20, 0x1e0, s3, v0
	s_clause 0x3
	global_store_b128 v50, v[20:23], s[22:23]
	global_store_b128 v50, v[26:29], s[22:23] offset:16
	global_store_b128 v50, v[30:33], s[22:23] offset:32
	;; [unrolled: 1-line block ×3, first 2 shown]
	s_wait_xcnt 0x0
	s_and_saveexec_b32 s3, s2
	s_cbranch_execz .LBB4_442
; %bb.435:                              ;   in Loop: Header=BB4_377 Depth=2
	s_clause 0x1
	global_load_b64 v[30:31], v1, s[12:13] offset:32 scope:SCOPE_SYS
	global_load_b64 v[20:21], v1, s[12:13] offset:40
	s_mov_b32 s22, exec_lo
	v_dual_mov_b32 v28, s20 :: v_dual_mov_b32 v29, s21
	s_wait_loadcnt 0x0
	v_and_b32_e32 v21, s21, v21
	v_and_b32_e32 v20, s20, v20
	s_delay_alu instid0(VALU_DEP_1) | instskip(NEXT) | instid1(VALU_DEP_1)
	v_mul_u64_e32 v[20:21], 24, v[20:21]
	v_add_nc_u64_e32 v[26:27], v[38:39], v[20:21]
	global_store_b64 v[26:27], v[30:31], off
	global_wb scope:SCOPE_SYS
	s_wait_storecnt 0x0
	s_wait_xcnt 0x0
	global_atomic_cmpswap_b64 v[22:23], v1, v[28:31], s[12:13] offset:32 th:TH_ATOMIC_RETURN scope:SCOPE_SYS
	s_wait_loadcnt 0x0
	s_wait_xcnt 0x0
	v_cmpx_ne_u64_e64 v[22:23], v[30:31]
	s_cbranch_execz .LBB4_438
; %bb.436:                              ;   in Loop: Header=BB4_377 Depth=2
	s_mov_b32 s23, 0
.LBB4_437:                              ;   Parent Loop BB4_3 Depth=1
                                        ;     Parent Loop BB4_377 Depth=2
                                        ; =>    This Inner Loop Header: Depth=3
	v_dual_mov_b32 v20, s20 :: v_dual_mov_b32 v21, s21
	s_sleep 1
	global_store_b64 v[26:27], v[22:23], off
	global_wb scope:SCOPE_SYS
	s_wait_storecnt 0x0
	s_wait_xcnt 0x0
	global_atomic_cmpswap_b64 v[20:21], v1, v[20:23], s[12:13] offset:32 th:TH_ATOMIC_RETURN scope:SCOPE_SYS
	s_wait_loadcnt 0x0
	v_cmp_eq_u64_e32 vcc_lo, v[20:21], v[22:23]
	s_wait_xcnt 0x0
	v_mov_b64_e32 v[22:23], v[20:21]
	s_or_b32 s23, vcc_lo, s23
	s_delay_alu instid0(SALU_CYCLE_1)
	s_and_not1_b32 exec_lo, exec_lo, s23
	s_cbranch_execnz .LBB4_437
.LBB4_438:                              ;   in Loop: Header=BB4_377 Depth=2
	s_or_b32 exec_lo, exec_lo, s22
	global_load_b64 v[20:21], v1, s[12:13] offset:16
	s_mov_b32 s23, exec_lo
	s_mov_b32 s22, exec_lo
	v_mbcnt_lo_u32_b32 v0, s23, 0
	s_wait_xcnt 0x0
	s_delay_alu instid0(VALU_DEP_1)
	v_cmpx_eq_u32_e32 0, v0
	s_cbranch_execz .LBB4_440
; %bb.439:                              ;   in Loop: Header=BB4_377 Depth=2
	s_bcnt1_i32_b32 s23, s23
	s_delay_alu instid0(SALU_CYCLE_1)
	v_mov_b32_e32 v0, s23
	global_wb scope:SCOPE_SYS
	s_wait_loadcnt 0x0
	s_wait_storecnt 0x0
	global_atomic_add_u64 v[20:21], v[0:1], off offset:8 scope:SCOPE_SYS
.LBB4_440:                              ;   in Loop: Header=BB4_377 Depth=2
	s_wait_xcnt 0x0
	s_or_b32 exec_lo, exec_lo, s22
	s_wait_loadcnt 0x0
	global_load_b64 v[22:23], v[20:21], off offset:16
	s_wait_loadcnt 0x0
	v_cmp_eq_u64_e32 vcc_lo, 0, v[22:23]
	s_cbranch_vccnz .LBB4_442
; %bb.441:                              ;   in Loop: Header=BB4_377 Depth=2
	global_load_b32 v0, v[20:21], off offset:24
	s_wait_loadcnt 0x0
	v_readfirstlane_b32 s22, v0
	global_wb scope:SCOPE_SYS
	s_wait_storecnt 0x0
	s_wait_xcnt 0x0
	global_store_b64 v[22:23], v[0:1], off scope:SCOPE_SYS
	s_and_b32 m0, s22, 0xffffff
	s_sendmsg sendmsg(MSG_INTERRUPT)
.LBB4_442:                              ;   in Loop: Header=BB4_377 Depth=2
	s_wait_xcnt 0x0
	s_or_b32 exec_lo, exec_lo, s3
	v_mov_b32_e32 v51, v1
	s_delay_alu instid0(VALU_DEP_1)
	v_add_nc_u64_e32 v[20:21], v[40:41], v[50:51]
	s_branch .LBB4_446
.LBB4_443:                              ;   in Loop: Header=BB4_446 Depth=3
	s_wait_xcnt 0x0
	s_or_b32 exec_lo, exec_lo, s3
	s_delay_alu instid0(VALU_DEP_1)
	v_readfirstlane_b32 s3, v0
	s_cmp_eq_u32 s3, 0
	s_cbranch_scc1 .LBB4_445
; %bb.444:                              ;   in Loop: Header=BB4_446 Depth=3
	s_sleep 1
	s_cbranch_execnz .LBB4_446
	s_branch .LBB4_448
.LBB4_445:                              ;   in Loop: Header=BB4_377 Depth=2
	s_branch .LBB4_448
.LBB4_446:                              ;   Parent Loop BB4_3 Depth=1
                                        ;     Parent Loop BB4_377 Depth=2
                                        ; =>    This Inner Loop Header: Depth=3
	v_mov_b32_e32 v0, 1
	s_and_saveexec_b32 s3, s2
	s_cbranch_execz .LBB4_443
; %bb.447:                              ;   in Loop: Header=BB4_446 Depth=3
	global_load_b32 v0, v[16:17], off offset:20 scope:SCOPE_SYS
	s_wait_loadcnt 0x0
	global_inv scope:SCOPE_SYS
	v_and_b32_e32 v0, 1, v0
	s_branch .LBB4_443
.LBB4_448:                              ;   in Loop: Header=BB4_377 Depth=2
	global_load_b64 v[20:21], v[20:21], off
	s_wait_xcnt 0x0
	s_and_saveexec_b32 s22, s2
	s_cbranch_execz .LBB4_376
; %bb.449:                              ;   in Loop: Header=BB4_377 Depth=2
	s_clause 0x2
	global_load_b64 v[16:17], v1, s[12:13] offset:40
	global_load_b64 v[30:31], v1, s[12:13] offset:24 scope:SCOPE_SYS
	global_load_b64 v[22:23], v1, s[12:13]
	s_wait_loadcnt 0x2
	v_readfirstlane_b32 s28, v16
	v_readfirstlane_b32 s29, v17
	s_add_nc_u64 s[2:3], s[28:29], 1
	s_delay_alu instid0(SALU_CYCLE_1) | instskip(NEXT) | instid1(SALU_CYCLE_1)
	s_add_nc_u64 s[20:21], s[2:3], s[20:21]
	s_cmp_eq_u64 s[20:21], 0
	s_cselect_b32 s3, s3, s21
	s_cselect_b32 s2, s2, s20
	s_delay_alu instid0(SALU_CYCLE_1) | instskip(SKIP_1) | instid1(SALU_CYCLE_1)
	v_dual_mov_b32 v29, s3 :: v_dual_mov_b32 v28, s2
	s_and_b64 s[20:21], s[2:3], s[28:29]
	s_mul_u64 s[20:21], s[20:21], 24
	s_wait_loadcnt 0x0
	v_add_nc_u64_e32 v[16:17], s[20:21], v[22:23]
	global_store_b64 v[16:17], v[30:31], off
	global_wb scope:SCOPE_SYS
	s_wait_storecnt 0x0
	s_wait_xcnt 0x0
	global_atomic_cmpswap_b64 v[28:29], v1, v[28:31], s[12:13] offset:24 th:TH_ATOMIC_RETURN scope:SCOPE_SYS
	s_wait_loadcnt 0x0
	v_cmp_ne_u64_e32 vcc_lo, v[28:29], v[30:31]
	s_wait_xcnt 0x0
	s_and_b32 exec_lo, exec_lo, vcc_lo
	s_cbranch_execz .LBB4_376
; %bb.450:                              ;   in Loop: Header=BB4_377 Depth=2
	s_mov_b32 s20, 0
.LBB4_451:                              ;   Parent Loop BB4_3 Depth=1
                                        ;     Parent Loop BB4_377 Depth=2
                                        ; =>    This Inner Loop Header: Depth=3
	v_dual_mov_b32 v26, s2 :: v_dual_mov_b32 v27, s3
	s_sleep 1
	global_store_b64 v[16:17], v[28:29], off
	global_wb scope:SCOPE_SYS
	s_wait_storecnt 0x0
	s_wait_xcnt 0x0
	global_atomic_cmpswap_b64 v[22:23], v1, v[26:29], s[12:13] offset:24 th:TH_ATOMIC_RETURN scope:SCOPE_SYS
	s_wait_loadcnt 0x0
	v_cmp_eq_u64_e32 vcc_lo, v[22:23], v[28:29]
	s_wait_xcnt 0x0
	v_mov_b64_e32 v[28:29], v[22:23]
	s_or_b32 s20, vcc_lo, s20
	s_delay_alu instid0(SALU_CYCLE_1)
	s_and_not1_b32 exec_lo, exec_lo, s20
	s_cbranch_execnz .LBB4_451
	s_branch .LBB4_376
.LBB4_452:                              ;   in Loop: Header=BB4_3 Depth=1
	s_branch .LBB4_509
.LBB4_453:                              ;   in Loop: Header=BB4_3 Depth=1
                                        ; implicit-def: $vgpr24_vgpr25
	s_cbranch_execz .LBB4_374
; %bb.454:                              ;   in Loop: Header=BB4_3 Depth=1
	v_readfirstlane_b32 s2, v46
	v_mov_b64_e32 v[6:7], 0
	s_delay_alu instid0(VALU_DEP_2)
	v_cmp_eq_u32_e64 s2, s2, v46
	s_and_saveexec_b32 s3, s2
	s_cbranch_execz .LBB4_460
; %bb.455:                              ;   in Loop: Header=BB4_3 Depth=1
	s_wait_loadcnt 0x0
	global_load_b64 v[24:25], v1, s[12:13] offset:24 scope:SCOPE_SYS
	s_wait_loadcnt 0x0
	global_inv scope:SCOPE_SYS
	s_clause 0x1
	global_load_b64 v[6:7], v1, s[12:13] offset:40
	global_load_b64 v[16:17], v1, s[12:13]
	s_mov_b32 s14, exec_lo
	s_wait_loadcnt 0x1
	v_and_b32_e32 v6, v6, v24
	v_and_b32_e32 v7, v7, v25
	s_delay_alu instid0(VALU_DEP_1) | instskip(SKIP_1) | instid1(VALU_DEP_1)
	v_mul_u64_e32 v[6:7], 24, v[6:7]
	s_wait_loadcnt 0x0
	v_add_nc_u64_e32 v[6:7], v[16:17], v[6:7]
	global_load_b64 v[22:23], v[6:7], off scope:SCOPE_SYS
	s_wait_xcnt 0x0
	s_wait_loadcnt 0x0
	global_atomic_cmpswap_b64 v[6:7], v1, v[22:25], s[12:13] offset:24 th:TH_ATOMIC_RETURN scope:SCOPE_SYS
	s_wait_loadcnt 0x0
	global_inv scope:SCOPE_SYS
	s_wait_xcnt 0x0
	v_cmpx_ne_u64_e64 v[6:7], v[24:25]
	s_cbranch_execz .LBB4_459
; %bb.456:                              ;   in Loop: Header=BB4_3 Depth=1
	s_mov_b32 s15, 0
.LBB4_457:                              ;   Parent Loop BB4_3 Depth=1
                                        ; =>  This Inner Loop Header: Depth=2
	s_sleep 1
	s_clause 0x1
	global_load_b64 v[16:17], v1, s[12:13] offset:40
	global_load_b64 v[22:23], v1, s[12:13]
	v_mov_b64_e32 v[24:25], v[6:7]
	s_wait_loadcnt 0x1
	s_delay_alu instid0(VALU_DEP_1) | instskip(SKIP_1) | instid1(VALU_DEP_1)
	v_and_b32_e32 v0, v16, v24
	s_wait_loadcnt 0x0
	v_mad_nc_u64_u32 v[6:7], v0, 24, v[22:23]
	s_delay_alu instid0(VALU_DEP_3) | instskip(NEXT) | instid1(VALU_DEP_1)
	v_and_b32_e32 v0, v17, v25
	v_mad_u32 v7, v0, 24, v7
	global_load_b64 v[22:23], v[6:7], off scope:SCOPE_SYS
	s_wait_xcnt 0x0
	s_wait_loadcnt 0x0
	global_atomic_cmpswap_b64 v[6:7], v1, v[22:25], s[12:13] offset:24 th:TH_ATOMIC_RETURN scope:SCOPE_SYS
	s_wait_loadcnt 0x0
	global_inv scope:SCOPE_SYS
	v_cmp_eq_u64_e32 vcc_lo, v[6:7], v[24:25]
	s_or_b32 s15, vcc_lo, s15
	s_wait_xcnt 0x0
	s_and_not1_b32 exec_lo, exec_lo, s15
	s_cbranch_execnz .LBB4_457
; %bb.458:                              ;   in Loop: Header=BB4_3 Depth=1
	s_or_b32 exec_lo, exec_lo, s15
.LBB4_459:                              ;   in Loop: Header=BB4_3 Depth=1
	s_delay_alu instid0(SALU_CYCLE_1)
	s_or_b32 exec_lo, exec_lo, s14
.LBB4_460:                              ;   in Loop: Header=BB4_3 Depth=1
	s_delay_alu instid0(SALU_CYCLE_1)
	s_or_b32 exec_lo, exec_lo, s3
	global_load_b64 v[16:17], v1, s[12:13] offset:40
	s_wait_loadcnt 0x1
	global_load_b128 v[24:27], v1, s[12:13]
	v_readfirstlane_b32 s14, v6
	v_readfirstlane_b32 s15, v7
	s_mov_b32 s3, exec_lo
	s_wait_loadcnt 0x1
	v_and_b32_e32 v16, s14, v16
	v_and_b32_e32 v17, s15, v17
	s_delay_alu instid0(VALU_DEP_1) | instskip(SKIP_1) | instid1(VALU_DEP_1)
	v_mul_u64_e32 v[6:7], 24, v[16:17]
	s_wait_loadcnt 0x0
	v_add_nc_u64_e32 v[6:7], v[24:25], v[6:7]
	s_wait_xcnt 0x0
	s_and_saveexec_b32 s16, s2
	s_cbranch_execz .LBB4_462
; %bb.461:                              ;   in Loop: Header=BB4_3 Depth=1
	v_mov_b32_e32 v0, s3
	global_store_b128 v[6:7], v[0:3], off offset:8
.LBB4_462:                              ;   in Loop: Header=BB4_3 Depth=1
	s_wait_xcnt 0x0
	s_or_b32 exec_lo, exec_lo, s16
	v_lshlrev_b64_e32 v[16:17], 12, v[16:17]
	v_and_or_b32 v20, 0xffffff1f, v20, 32
	v_dual_mov_b32 v22, v1 :: v_dual_mov_b32 v23, v1
	s_delay_alu instid0(VALU_DEP_3) | instskip(SKIP_2) | instid1(VALU_DEP_3)
	v_add_nc_u64_e32 v[16:17], v[26:27], v[16:17]
	v_mov_b64_e32 v[28:29], s[6:7]
	v_mov_b64_e32 v[26:27], s[4:5]
	v_readfirstlane_b32 s16, v16
	s_delay_alu instid0(VALU_DEP_4)
	v_readfirstlane_b32 s17, v17
	s_clause 0x3
	global_store_b128 v50, v[20:23], s[16:17]
	global_store_b128 v50, v[26:29], s[16:17] offset:16
	global_store_b128 v50, v[26:29], s[16:17] offset:32
	;; [unrolled: 1-line block ×3, first 2 shown]
	s_wait_xcnt 0x0
	s_and_saveexec_b32 s3, s2
	s_cbranch_execz .LBB4_470
; %bb.463:                              ;   in Loop: Header=BB4_3 Depth=1
	s_clause 0x1
	global_load_b64 v[28:29], v1, s[12:13] offset:32 scope:SCOPE_SYS
	global_load_b64 v[20:21], v1, s[12:13] offset:40
	s_mov_b32 s16, exec_lo
	v_dual_mov_b32 v26, s14 :: v_dual_mov_b32 v27, s15
	s_wait_loadcnt 0x0
	v_and_b32_e32 v21, s15, v21
	v_and_b32_e32 v20, s14, v20
	s_delay_alu instid0(VALU_DEP_1) | instskip(NEXT) | instid1(VALU_DEP_1)
	v_mul_u64_e32 v[20:21], 24, v[20:21]
	v_add_nc_u64_e32 v[24:25], v[24:25], v[20:21]
	global_store_b64 v[24:25], v[28:29], off
	global_wb scope:SCOPE_SYS
	s_wait_storecnt 0x0
	s_wait_xcnt 0x0
	global_atomic_cmpswap_b64 v[22:23], v1, v[26:29], s[12:13] offset:32 th:TH_ATOMIC_RETURN scope:SCOPE_SYS
	s_wait_loadcnt 0x0
	s_wait_xcnt 0x0
	v_cmpx_ne_u64_e64 v[22:23], v[28:29]
	s_cbranch_execz .LBB4_466
; %bb.464:                              ;   in Loop: Header=BB4_3 Depth=1
	s_mov_b32 s17, 0
.LBB4_465:                              ;   Parent Loop BB4_3 Depth=1
                                        ; =>  This Inner Loop Header: Depth=2
	v_dual_mov_b32 v20, s14 :: v_dual_mov_b32 v21, s15
	s_sleep 1
	global_store_b64 v[24:25], v[22:23], off
	global_wb scope:SCOPE_SYS
	s_wait_storecnt 0x0
	s_wait_xcnt 0x0
	global_atomic_cmpswap_b64 v[20:21], v1, v[20:23], s[12:13] offset:32 th:TH_ATOMIC_RETURN scope:SCOPE_SYS
	s_wait_loadcnt 0x0
	v_cmp_eq_u64_e32 vcc_lo, v[20:21], v[22:23]
	s_wait_xcnt 0x0
	v_mov_b64_e32 v[22:23], v[20:21]
	s_or_b32 s17, vcc_lo, s17
	s_delay_alu instid0(SALU_CYCLE_1)
	s_and_not1_b32 exec_lo, exec_lo, s17
	s_cbranch_execnz .LBB4_465
.LBB4_466:                              ;   in Loop: Header=BB4_3 Depth=1
	s_or_b32 exec_lo, exec_lo, s16
	global_load_b64 v[20:21], v1, s[12:13] offset:16
	s_mov_b32 s17, exec_lo
	s_mov_b32 s16, exec_lo
	v_mbcnt_lo_u32_b32 v0, s17, 0
	s_wait_xcnt 0x0
	s_delay_alu instid0(VALU_DEP_1)
	v_cmpx_eq_u32_e32 0, v0
	s_cbranch_execz .LBB4_468
; %bb.467:                              ;   in Loop: Header=BB4_3 Depth=1
	s_bcnt1_i32_b32 s17, s17
	s_delay_alu instid0(SALU_CYCLE_1)
	v_mov_b32_e32 v0, s17
	global_wb scope:SCOPE_SYS
	s_wait_loadcnt 0x0
	s_wait_storecnt 0x0
	global_atomic_add_u64 v[20:21], v[0:1], off offset:8 scope:SCOPE_SYS
.LBB4_468:                              ;   in Loop: Header=BB4_3 Depth=1
	s_wait_xcnt 0x0
	s_or_b32 exec_lo, exec_lo, s16
	s_wait_loadcnt 0x0
	global_load_b64 v[22:23], v[20:21], off offset:16
	s_wait_loadcnt 0x0
	v_cmp_eq_u64_e32 vcc_lo, 0, v[22:23]
	s_cbranch_vccnz .LBB4_470
; %bb.469:                              ;   in Loop: Header=BB4_3 Depth=1
	global_load_b32 v0, v[20:21], off offset:24
	s_wait_loadcnt 0x0
	v_readfirstlane_b32 s16, v0
	global_wb scope:SCOPE_SYS
	s_wait_storecnt 0x0
	s_wait_xcnt 0x0
	global_store_b64 v[22:23], v[0:1], off scope:SCOPE_SYS
	s_and_b32 m0, s16, 0xffffff
	s_sendmsg sendmsg(MSG_INTERRUPT)
.LBB4_470:                              ;   in Loop: Header=BB4_3 Depth=1
	s_wait_xcnt 0x0
	s_or_b32 exec_lo, exec_lo, s3
	v_mov_b32_e32 v51, v1
	s_delay_alu instid0(VALU_DEP_1)
	v_add_nc_u64_e32 v[16:17], v[16:17], v[50:51]
	s_branch .LBB4_474
.LBB4_471:                              ;   in Loop: Header=BB4_474 Depth=2
	s_wait_xcnt 0x0
	s_or_b32 exec_lo, exec_lo, s3
	s_delay_alu instid0(VALU_DEP_1)
	v_readfirstlane_b32 s3, v0
	s_cmp_eq_u32 s3, 0
	s_cbranch_scc1 .LBB4_473
; %bb.472:                              ;   in Loop: Header=BB4_474 Depth=2
	s_sleep 1
	s_cbranch_execnz .LBB4_474
	s_branch .LBB4_476
.LBB4_473:                              ;   in Loop: Header=BB4_3 Depth=1
	s_branch .LBB4_476
.LBB4_474:                              ;   Parent Loop BB4_3 Depth=1
                                        ; =>  This Inner Loop Header: Depth=2
	v_mov_b32_e32 v0, 1
	s_and_saveexec_b32 s3, s2
	s_cbranch_execz .LBB4_471
; %bb.475:                              ;   in Loop: Header=BB4_474 Depth=2
	global_load_b32 v0, v[6:7], off offset:20 scope:SCOPE_SYS
	s_wait_loadcnt 0x0
	global_inv scope:SCOPE_SYS
	v_and_b32_e32 v0, 1, v0
	s_branch .LBB4_471
.LBB4_476:                              ;   in Loop: Header=BB4_3 Depth=1
	global_load_b64 v[24:25], v[16:17], off
	s_wait_xcnt 0x0
	s_and_saveexec_b32 s16, s2
	s_cbranch_execz .LBB4_480
; %bb.477:                              ;   in Loop: Header=BB4_3 Depth=1
	s_clause 0x2
	global_load_b64 v[6:7], v1, s[12:13] offset:40
	global_load_b64 v[28:29], v1, s[12:13] offset:24 scope:SCOPE_SYS
	global_load_b64 v[16:17], v1, s[12:13]
	s_wait_loadcnt 0x2
	v_readfirstlane_b32 s18, v6
	v_readfirstlane_b32 s19, v7
	s_add_nc_u64 s[2:3], s[18:19], 1
	s_delay_alu instid0(SALU_CYCLE_1) | instskip(NEXT) | instid1(SALU_CYCLE_1)
	s_add_nc_u64 s[14:15], s[2:3], s[14:15]
	s_cmp_eq_u64 s[14:15], 0
	s_cselect_b32 s3, s3, s15
	s_cselect_b32 s2, s2, s14
	s_delay_alu instid0(SALU_CYCLE_1) | instskip(SKIP_1) | instid1(SALU_CYCLE_1)
	v_dual_mov_b32 v27, s3 :: v_dual_mov_b32 v26, s2
	s_and_b64 s[14:15], s[2:3], s[18:19]
	s_mul_u64 s[14:15], s[14:15], 24
	s_wait_loadcnt 0x0
	v_add_nc_u64_e32 v[6:7], s[14:15], v[16:17]
	global_store_b64 v[6:7], v[28:29], off
	global_wb scope:SCOPE_SYS
	s_wait_storecnt 0x0
	s_wait_xcnt 0x0
	global_atomic_cmpswap_b64 v[22:23], v1, v[26:29], s[12:13] offset:24 th:TH_ATOMIC_RETURN scope:SCOPE_SYS
	s_wait_loadcnt 0x0
	v_cmp_ne_u64_e32 vcc_lo, v[22:23], v[28:29]
	s_wait_xcnt 0x0
	s_and_b32 exec_lo, exec_lo, vcc_lo
	s_cbranch_execz .LBB4_480
; %bb.478:                              ;   in Loop: Header=BB4_3 Depth=1
	s_mov_b32 s14, 0
.LBB4_479:                              ;   Parent Loop BB4_3 Depth=1
                                        ; =>  This Inner Loop Header: Depth=2
	v_dual_mov_b32 v20, s2 :: v_dual_mov_b32 v21, s3
	s_sleep 1
	global_store_b64 v[6:7], v[22:23], off
	global_wb scope:SCOPE_SYS
	s_wait_storecnt 0x0
	s_wait_xcnt 0x0
	global_atomic_cmpswap_b64 v[16:17], v1, v[20:23], s[12:13] offset:24 th:TH_ATOMIC_RETURN scope:SCOPE_SYS
	s_wait_loadcnt 0x0
	v_cmp_eq_u64_e32 vcc_lo, v[16:17], v[22:23]
	s_wait_xcnt 0x0
	v_mov_b64_e32 v[22:23], v[16:17]
	s_or_b32 s14, vcc_lo, s14
	s_delay_alu instid0(SALU_CYCLE_1)
	s_and_not1_b32 exec_lo, exec_lo, s14
	s_cbranch_execnz .LBB4_479
.LBB4_480:                              ;   in Loop: Header=BB4_3 Depth=1
	s_or_b32 exec_lo, exec_lo, s16
	s_delay_alu instid0(SALU_CYCLE_1)
	s_and_b32 vcc_lo, exec_lo, s26
	s_cbranch_vccnz .LBB4_375
.LBB4_481:                              ;   in Loop: Header=BB4_3 Depth=1
                                        ; implicit-def: $vgpr20_vgpr21
	s_cbranch_execz .LBB4_509
; %bb.482:                              ;   in Loop: Header=BB4_3 Depth=1
	v_readfirstlane_b32 s2, v46
	v_mov_b64_e32 v[6:7], 0
	s_delay_alu instid0(VALU_DEP_2)
	v_cmp_eq_u32_e64 s2, s2, v46
	s_and_saveexec_b32 s3, s2
	s_cbranch_execz .LBB4_488
; %bb.483:                              ;   in Loop: Header=BB4_3 Depth=1
	global_load_b64 v[22:23], v1, s[12:13] offset:24 scope:SCOPE_SYS
	s_wait_loadcnt 0x0
	global_inv scope:SCOPE_SYS
	s_clause 0x1
	global_load_b64 v[6:7], v1, s[12:13] offset:40
	global_load_b64 v[16:17], v1, s[12:13]
	s_mov_b32 s14, exec_lo
	s_wait_loadcnt 0x1
	v_and_b32_e32 v6, v6, v22
	v_and_b32_e32 v7, v7, v23
	s_delay_alu instid0(VALU_DEP_1) | instskip(SKIP_1) | instid1(VALU_DEP_1)
	v_mul_u64_e32 v[6:7], 24, v[6:7]
	s_wait_loadcnt 0x0
	v_add_nc_u64_e32 v[6:7], v[16:17], v[6:7]
	global_load_b64 v[20:21], v[6:7], off scope:SCOPE_SYS
	s_wait_xcnt 0x0
	s_wait_loadcnt 0x0
	global_atomic_cmpswap_b64 v[6:7], v1, v[20:23], s[12:13] offset:24 th:TH_ATOMIC_RETURN scope:SCOPE_SYS
	s_wait_loadcnt 0x0
	global_inv scope:SCOPE_SYS
	s_wait_xcnt 0x0
	v_cmpx_ne_u64_e64 v[6:7], v[22:23]
	s_cbranch_execz .LBB4_487
; %bb.484:                              ;   in Loop: Header=BB4_3 Depth=1
	s_mov_b32 s15, 0
.LBB4_485:                              ;   Parent Loop BB4_3 Depth=1
                                        ; =>  This Inner Loop Header: Depth=2
	s_sleep 1
	s_clause 0x1
	global_load_b64 v[16:17], v1, s[12:13] offset:40
	global_load_b64 v[20:21], v1, s[12:13]
	v_mov_b64_e32 v[22:23], v[6:7]
	s_wait_loadcnt 0x1
	s_delay_alu instid0(VALU_DEP_1) | instskip(SKIP_1) | instid1(VALU_DEP_1)
	v_and_b32_e32 v0, v16, v22
	s_wait_loadcnt 0x0
	v_mad_nc_u64_u32 v[6:7], v0, 24, v[20:21]
	s_delay_alu instid0(VALU_DEP_3) | instskip(NEXT) | instid1(VALU_DEP_1)
	v_and_b32_e32 v0, v17, v23
	v_mad_u32 v7, v0, 24, v7
	global_load_b64 v[20:21], v[6:7], off scope:SCOPE_SYS
	s_wait_xcnt 0x0
	s_wait_loadcnt 0x0
	global_atomic_cmpswap_b64 v[6:7], v1, v[20:23], s[12:13] offset:24 th:TH_ATOMIC_RETURN scope:SCOPE_SYS
	s_wait_loadcnt 0x0
	global_inv scope:SCOPE_SYS
	v_cmp_eq_u64_e32 vcc_lo, v[6:7], v[22:23]
	s_or_b32 s15, vcc_lo, s15
	s_wait_xcnt 0x0
	s_and_not1_b32 exec_lo, exec_lo, s15
	s_cbranch_execnz .LBB4_485
; %bb.486:                              ;   in Loop: Header=BB4_3 Depth=1
	s_or_b32 exec_lo, exec_lo, s15
.LBB4_487:                              ;   in Loop: Header=BB4_3 Depth=1
	s_delay_alu instid0(SALU_CYCLE_1)
	s_or_b32 exec_lo, exec_lo, s14
.LBB4_488:                              ;   in Loop: Header=BB4_3 Depth=1
	s_delay_alu instid0(SALU_CYCLE_1)
	s_or_b32 exec_lo, exec_lo, s3
	global_load_b64 v[16:17], v1, s[12:13] offset:40
	s_wait_loadcnt 0x1
	global_load_b128 v[20:23], v1, s[12:13]
	v_readfirstlane_b32 s14, v6
	v_readfirstlane_b32 s15, v7
	s_mov_b32 s3, exec_lo
	s_wait_loadcnt 0x1
	v_and_b32_e32 v16, s14, v16
	v_and_b32_e32 v17, s15, v17
	s_delay_alu instid0(VALU_DEP_1) | instskip(SKIP_1) | instid1(VALU_DEP_1)
	v_mul_u64_e32 v[6:7], 24, v[16:17]
	s_wait_loadcnt 0x0
	v_add_nc_u64_e32 v[6:7], v[20:21], v[6:7]
	s_wait_xcnt 0x0
	s_and_saveexec_b32 s16, s2
	s_cbranch_execz .LBB4_490
; %bb.489:                              ;   in Loop: Header=BB4_3 Depth=1
	v_mov_b32_e32 v0, s3
	global_store_b128 v[6:7], v[0:3], off offset:8
.LBB4_490:                              ;   in Loop: Header=BB4_3 Depth=1
	s_wait_xcnt 0x0
	s_or_b32 exec_lo, exec_lo, s16
	v_lshlrev_b64_e32 v[16:17], 12, v[16:17]
	v_mov_b64_e32 v[30:31], s[6:7]
	v_mov_b64_e32 v[28:29], s[4:5]
	v_and_or_b32 v24, 0xffffff1f, v24, 32
	v_dual_mov_b32 v26, v1 :: v_dual_mov_b32 v27, v1
	v_add_nc_u64_e32 v[16:17], v[22:23], v[16:17]
	s_delay_alu instid0(VALU_DEP_1) | instskip(NEXT) | instid1(VALU_DEP_2)
	v_readfirstlane_b32 s16, v16
	v_readfirstlane_b32 s17, v17
	s_clause 0x3
	global_store_b128 v50, v[24:27], s[16:17]
	global_store_b128 v50, v[28:31], s[16:17] offset:16
	global_store_b128 v50, v[28:31], s[16:17] offset:32
	;; [unrolled: 1-line block ×3, first 2 shown]
	s_wait_xcnt 0x0
	s_and_saveexec_b32 s3, s2
	s_cbranch_execz .LBB4_498
; %bb.491:                              ;   in Loop: Header=BB4_3 Depth=1
	s_clause 0x1
	global_load_b64 v[28:29], v1, s[12:13] offset:32 scope:SCOPE_SYS
	global_load_b64 v[22:23], v1, s[12:13] offset:40
	s_mov_b32 s16, exec_lo
	v_dual_mov_b32 v26, s14 :: v_dual_mov_b32 v27, s15
	s_wait_loadcnt 0x0
	v_and_b32_e32 v23, s15, v23
	v_and_b32_e32 v22, s14, v22
	s_delay_alu instid0(VALU_DEP_1) | instskip(NEXT) | instid1(VALU_DEP_1)
	v_mul_u64_e32 v[22:23], 24, v[22:23]
	v_add_nc_u64_e32 v[24:25], v[20:21], v[22:23]
	global_store_b64 v[24:25], v[28:29], off
	global_wb scope:SCOPE_SYS
	s_wait_storecnt 0x0
	s_wait_xcnt 0x0
	global_atomic_cmpswap_b64 v[22:23], v1, v[26:29], s[12:13] offset:32 th:TH_ATOMIC_RETURN scope:SCOPE_SYS
	s_wait_loadcnt 0x0
	s_wait_xcnt 0x0
	v_cmpx_ne_u64_e64 v[22:23], v[28:29]
	s_cbranch_execz .LBB4_494
; %bb.492:                              ;   in Loop: Header=BB4_3 Depth=1
	s_mov_b32 s17, 0
.LBB4_493:                              ;   Parent Loop BB4_3 Depth=1
                                        ; =>  This Inner Loop Header: Depth=2
	v_dual_mov_b32 v20, s14 :: v_dual_mov_b32 v21, s15
	s_sleep 1
	global_store_b64 v[24:25], v[22:23], off
	global_wb scope:SCOPE_SYS
	s_wait_storecnt 0x0
	s_wait_xcnt 0x0
	global_atomic_cmpswap_b64 v[20:21], v1, v[20:23], s[12:13] offset:32 th:TH_ATOMIC_RETURN scope:SCOPE_SYS
	s_wait_loadcnt 0x0
	v_cmp_eq_u64_e32 vcc_lo, v[20:21], v[22:23]
	s_wait_xcnt 0x0
	v_mov_b64_e32 v[22:23], v[20:21]
	s_or_b32 s17, vcc_lo, s17
	s_delay_alu instid0(SALU_CYCLE_1)
	s_and_not1_b32 exec_lo, exec_lo, s17
	s_cbranch_execnz .LBB4_493
.LBB4_494:                              ;   in Loop: Header=BB4_3 Depth=1
	s_or_b32 exec_lo, exec_lo, s16
	global_load_b64 v[20:21], v1, s[12:13] offset:16
	s_mov_b32 s17, exec_lo
	s_mov_b32 s16, exec_lo
	v_mbcnt_lo_u32_b32 v0, s17, 0
	s_wait_xcnt 0x0
	s_delay_alu instid0(VALU_DEP_1)
	v_cmpx_eq_u32_e32 0, v0
	s_cbranch_execz .LBB4_496
; %bb.495:                              ;   in Loop: Header=BB4_3 Depth=1
	s_bcnt1_i32_b32 s17, s17
	s_delay_alu instid0(SALU_CYCLE_1)
	v_mov_b32_e32 v0, s17
	global_wb scope:SCOPE_SYS
	s_wait_loadcnt 0x0
	s_wait_storecnt 0x0
	global_atomic_add_u64 v[20:21], v[0:1], off offset:8 scope:SCOPE_SYS
.LBB4_496:                              ;   in Loop: Header=BB4_3 Depth=1
	s_wait_xcnt 0x0
	s_or_b32 exec_lo, exec_lo, s16
	s_wait_loadcnt 0x0
	global_load_b64 v[22:23], v[20:21], off offset:16
	s_wait_loadcnt 0x0
	v_cmp_eq_u64_e32 vcc_lo, 0, v[22:23]
	s_cbranch_vccnz .LBB4_498
; %bb.497:                              ;   in Loop: Header=BB4_3 Depth=1
	global_load_b32 v0, v[20:21], off offset:24
	s_wait_loadcnt 0x0
	v_readfirstlane_b32 s16, v0
	global_wb scope:SCOPE_SYS
	s_wait_storecnt 0x0
	s_wait_xcnt 0x0
	global_store_b64 v[22:23], v[0:1], off scope:SCOPE_SYS
	s_and_b32 m0, s16, 0xffffff
	s_sendmsg sendmsg(MSG_INTERRUPT)
.LBB4_498:                              ;   in Loop: Header=BB4_3 Depth=1
	s_wait_xcnt 0x0
	s_or_b32 exec_lo, exec_lo, s3
	v_mov_b32_e32 v51, v1
	s_delay_alu instid0(VALU_DEP_1)
	v_add_nc_u64_e32 v[16:17], v[16:17], v[50:51]
	s_branch .LBB4_502
.LBB4_499:                              ;   in Loop: Header=BB4_502 Depth=2
	s_wait_xcnt 0x0
	s_or_b32 exec_lo, exec_lo, s3
	s_delay_alu instid0(VALU_DEP_1)
	v_readfirstlane_b32 s3, v0
	s_cmp_eq_u32 s3, 0
	s_cbranch_scc1 .LBB4_501
; %bb.500:                              ;   in Loop: Header=BB4_502 Depth=2
	s_sleep 1
	s_cbranch_execnz .LBB4_502
	s_branch .LBB4_504
.LBB4_501:                              ;   in Loop: Header=BB4_3 Depth=1
	s_branch .LBB4_504
.LBB4_502:                              ;   Parent Loop BB4_3 Depth=1
                                        ; =>  This Inner Loop Header: Depth=2
	v_mov_b32_e32 v0, 1
	s_and_saveexec_b32 s3, s2
	s_cbranch_execz .LBB4_499
; %bb.503:                              ;   in Loop: Header=BB4_502 Depth=2
	global_load_b32 v0, v[6:7], off offset:20 scope:SCOPE_SYS
	s_wait_loadcnt 0x0
	global_inv scope:SCOPE_SYS
	v_and_b32_e32 v0, 1, v0
	s_branch .LBB4_499
.LBB4_504:                              ;   in Loop: Header=BB4_3 Depth=1
	global_load_b64 v[20:21], v[16:17], off
	s_wait_xcnt 0x0
	s_and_saveexec_b32 s16, s2
	s_cbranch_execz .LBB4_508
; %bb.505:                              ;   in Loop: Header=BB4_3 Depth=1
	s_clause 0x2
	global_load_b64 v[6:7], v1, s[12:13] offset:40
	global_load_b64 v[26:27], v1, s[12:13] offset:24 scope:SCOPE_SYS
	global_load_b64 v[16:17], v1, s[12:13]
	s_wait_loadcnt 0x2
	v_readfirstlane_b32 s18, v6
	v_readfirstlane_b32 s19, v7
	s_add_nc_u64 s[2:3], s[18:19], 1
	s_delay_alu instid0(SALU_CYCLE_1) | instskip(NEXT) | instid1(SALU_CYCLE_1)
	s_add_nc_u64 s[14:15], s[2:3], s[14:15]
	s_cmp_eq_u64 s[14:15], 0
	s_cselect_b32 s3, s3, s15
	s_cselect_b32 s2, s2, s14
	s_delay_alu instid0(SALU_CYCLE_1) | instskip(SKIP_1) | instid1(SALU_CYCLE_1)
	v_dual_mov_b32 v25, s3 :: v_dual_mov_b32 v24, s2
	s_and_b64 s[14:15], s[2:3], s[18:19]
	s_mul_u64 s[14:15], s[14:15], 24
	s_wait_loadcnt 0x0
	v_add_nc_u64_e32 v[6:7], s[14:15], v[16:17]
	global_store_b64 v[6:7], v[26:27], off
	global_wb scope:SCOPE_SYS
	s_wait_storecnt 0x0
	s_wait_xcnt 0x0
	global_atomic_cmpswap_b64 v[24:25], v1, v[24:27], s[12:13] offset:24 th:TH_ATOMIC_RETURN scope:SCOPE_SYS
	s_wait_loadcnt 0x0
	v_cmp_ne_u64_e32 vcc_lo, v[24:25], v[26:27]
	s_wait_xcnt 0x0
	s_and_b32 exec_lo, exec_lo, vcc_lo
	s_cbranch_execz .LBB4_508
; %bb.506:                              ;   in Loop: Header=BB4_3 Depth=1
	s_mov_b32 s14, 0
.LBB4_507:                              ;   Parent Loop BB4_3 Depth=1
                                        ; =>  This Inner Loop Header: Depth=2
	v_dual_mov_b32 v22, s2 :: v_dual_mov_b32 v23, s3
	s_sleep 1
	global_store_b64 v[6:7], v[24:25], off
	global_wb scope:SCOPE_SYS
	s_wait_storecnt 0x0
	s_wait_xcnt 0x0
	global_atomic_cmpswap_b64 v[16:17], v1, v[22:25], s[12:13] offset:24 th:TH_ATOMIC_RETURN scope:SCOPE_SYS
	s_wait_loadcnt 0x0
	v_cmp_eq_u64_e32 vcc_lo, v[16:17], v[24:25]
	s_wait_xcnt 0x0
	v_mov_b64_e32 v[24:25], v[16:17]
	s_or_b32 s14, vcc_lo, s14
	s_delay_alu instid0(SALU_CYCLE_1)
	s_and_not1_b32 exec_lo, exec_lo, s14
	s_cbranch_execnz .LBB4_507
.LBB4_508:                              ;   in Loop: Header=BB4_3 Depth=1
	s_or_b32 exec_lo, exec_lo, s16
.LBB4_509:                              ;   in Loop: Header=BB4_3 Depth=1
	v_readfirstlane_b32 s2, v46
	v_mov_b64_e32 v[6:7], 0
	s_delay_alu instid0(VALU_DEP_2)
	v_cmp_eq_u32_e64 s2, s2, v46
	s_and_saveexec_b32 s3, s2
	s_cbranch_execz .LBB4_515
; %bb.510:                              ;   in Loop: Header=BB4_3 Depth=1
	s_wait_loadcnt 0x0
	global_load_b64 v[24:25], v1, s[12:13] offset:24 scope:SCOPE_SYS
	s_wait_loadcnt 0x0
	global_inv scope:SCOPE_SYS
	s_clause 0x1
	global_load_b64 v[6:7], v1, s[12:13] offset:40
	global_load_b64 v[16:17], v1, s[12:13]
	s_mov_b32 s14, exec_lo
	s_wait_loadcnt 0x1
	v_and_b32_e32 v6, v6, v24
	v_and_b32_e32 v7, v7, v25
	s_delay_alu instid0(VALU_DEP_1) | instskip(SKIP_1) | instid1(VALU_DEP_1)
	v_mul_u64_e32 v[6:7], 24, v[6:7]
	s_wait_loadcnt 0x0
	v_add_nc_u64_e32 v[6:7], v[16:17], v[6:7]
	global_load_b64 v[22:23], v[6:7], off scope:SCOPE_SYS
	s_wait_xcnt 0x0
	s_wait_loadcnt 0x0
	global_atomic_cmpswap_b64 v[6:7], v1, v[22:25], s[12:13] offset:24 th:TH_ATOMIC_RETURN scope:SCOPE_SYS
	s_wait_loadcnt 0x0
	global_inv scope:SCOPE_SYS
	s_wait_xcnt 0x0
	v_cmpx_ne_u64_e64 v[6:7], v[24:25]
	s_cbranch_execz .LBB4_514
; %bb.511:                              ;   in Loop: Header=BB4_3 Depth=1
	s_mov_b32 s15, 0
.LBB4_512:                              ;   Parent Loop BB4_3 Depth=1
                                        ; =>  This Inner Loop Header: Depth=2
	s_sleep 1
	s_clause 0x1
	global_load_b64 v[16:17], v1, s[12:13] offset:40
	global_load_b64 v[22:23], v1, s[12:13]
	v_mov_b64_e32 v[24:25], v[6:7]
	s_wait_loadcnt 0x1
	s_delay_alu instid0(VALU_DEP_1) | instskip(SKIP_1) | instid1(VALU_DEP_1)
	v_and_b32_e32 v0, v16, v24
	s_wait_loadcnt 0x0
	v_mad_nc_u64_u32 v[6:7], v0, 24, v[22:23]
	s_delay_alu instid0(VALU_DEP_3) | instskip(NEXT) | instid1(VALU_DEP_1)
	v_and_b32_e32 v0, v17, v25
	v_mad_u32 v7, v0, 24, v7
	global_load_b64 v[22:23], v[6:7], off scope:SCOPE_SYS
	s_wait_xcnt 0x0
	s_wait_loadcnt 0x0
	global_atomic_cmpswap_b64 v[6:7], v1, v[22:25], s[12:13] offset:24 th:TH_ATOMIC_RETURN scope:SCOPE_SYS
	s_wait_loadcnt 0x0
	global_inv scope:SCOPE_SYS
	v_cmp_eq_u64_e32 vcc_lo, v[6:7], v[24:25]
	s_or_b32 s15, vcc_lo, s15
	s_wait_xcnt 0x0
	s_and_not1_b32 exec_lo, exec_lo, s15
	s_cbranch_execnz .LBB4_512
; %bb.513:                              ;   in Loop: Header=BB4_3 Depth=1
	s_or_b32 exec_lo, exec_lo, s15
.LBB4_514:                              ;   in Loop: Header=BB4_3 Depth=1
	s_delay_alu instid0(SALU_CYCLE_1)
	s_or_b32 exec_lo, exec_lo, s14
.LBB4_515:                              ;   in Loop: Header=BB4_3 Depth=1
	s_delay_alu instid0(SALU_CYCLE_1)
	s_or_b32 exec_lo, exec_lo, s3
	global_load_b64 v[16:17], v1, s[12:13] offset:40
	s_wait_loadcnt 0x1
	global_load_b128 v[24:27], v1, s[12:13]
	v_readfirstlane_b32 s14, v6
	v_readfirstlane_b32 s15, v7
	s_mov_b32 s3, exec_lo
	s_wait_loadcnt 0x1
	v_and_b32_e32 v16, s14, v16
	v_and_b32_e32 v17, s15, v17
	s_delay_alu instid0(VALU_DEP_1) | instskip(SKIP_1) | instid1(VALU_DEP_1)
	v_mul_u64_e32 v[6:7], 24, v[16:17]
	s_wait_loadcnt 0x0
	v_add_nc_u64_e32 v[6:7], v[24:25], v[6:7]
	s_wait_xcnt 0x0
	s_and_saveexec_b32 s16, s2
	s_cbranch_execz .LBB4_517
; %bb.516:                              ;   in Loop: Header=BB4_3 Depth=1
	v_mov_b32_e32 v0, s3
	global_store_b128 v[6:7], v[0:3], off offset:8
.LBB4_517:                              ;   in Loop: Header=BB4_3 Depth=1
	s_wait_xcnt 0x0
	s_or_b32 exec_lo, exec_lo, s16
	v_lshlrev_b64_e32 v[16:17], 12, v[16:17]
	v_dual_mov_b32 v23, v1 :: v_dual_add_nc_u32 v22, v18, v47
	v_and_or_b32 v20, 0xffffff1d, v20, 34
	s_delay_alu instid0(VALU_DEP_3) | instskip(SKIP_2) | instid1(VALU_DEP_3)
	v_add_nc_u64_e32 v[16:17], v[26:27], v[16:17]
	v_mov_b64_e32 v[28:29], s[6:7]
	v_mov_b64_e32 v[26:27], s[4:5]
	v_readfirstlane_b32 s16, v16
	s_delay_alu instid0(VALU_DEP_4)
	v_readfirstlane_b32 s17, v17
	s_clause 0x3
	global_store_b128 v50, v[20:23], s[16:17]
	global_store_b128 v50, v[26:29], s[16:17] offset:16
	global_store_b128 v50, v[26:29], s[16:17] offset:32
	;; [unrolled: 1-line block ×3, first 2 shown]
	s_wait_xcnt 0x0
	s_and_saveexec_b32 s3, s2
	s_cbranch_execz .LBB4_525
; %bb.518:                              ;   in Loop: Header=BB4_3 Depth=1
	s_clause 0x1
	global_load_b64 v[28:29], v1, s[12:13] offset:32 scope:SCOPE_SYS
	global_load_b64 v[20:21], v1, s[12:13] offset:40
	s_mov_b32 s16, exec_lo
	v_dual_mov_b32 v26, s14 :: v_dual_mov_b32 v27, s15
	s_wait_loadcnt 0x0
	v_and_b32_e32 v21, s15, v21
	v_and_b32_e32 v20, s14, v20
	s_delay_alu instid0(VALU_DEP_1) | instskip(NEXT) | instid1(VALU_DEP_1)
	v_mul_u64_e32 v[20:21], 24, v[20:21]
	v_add_nc_u64_e32 v[20:21], v[24:25], v[20:21]
	global_store_b64 v[20:21], v[28:29], off
	global_wb scope:SCOPE_SYS
	s_wait_storecnt 0x0
	s_wait_xcnt 0x0
	global_atomic_cmpswap_b64 v[26:27], v1, v[26:29], s[12:13] offset:32 th:TH_ATOMIC_RETURN scope:SCOPE_SYS
	s_wait_loadcnt 0x0
	s_wait_xcnt 0x0
	v_cmpx_ne_u64_e64 v[26:27], v[28:29]
	s_cbranch_execz .LBB4_521
; %bb.519:                              ;   in Loop: Header=BB4_3 Depth=1
	s_mov_b32 s17, 0
.LBB4_520:                              ;   Parent Loop BB4_3 Depth=1
                                        ; =>  This Inner Loop Header: Depth=2
	v_dual_mov_b32 v24, s14 :: v_dual_mov_b32 v25, s15
	s_sleep 1
	global_store_b64 v[20:21], v[26:27], off
	global_wb scope:SCOPE_SYS
	s_wait_storecnt 0x0
	s_wait_xcnt 0x0
	global_atomic_cmpswap_b64 v[24:25], v1, v[24:27], s[12:13] offset:32 th:TH_ATOMIC_RETURN scope:SCOPE_SYS
	s_wait_loadcnt 0x0
	v_cmp_eq_u64_e32 vcc_lo, v[24:25], v[26:27]
	s_wait_xcnt 0x0
	v_mov_b64_e32 v[26:27], v[24:25]
	s_or_b32 s17, vcc_lo, s17
	s_delay_alu instid0(SALU_CYCLE_1)
	s_and_not1_b32 exec_lo, exec_lo, s17
	s_cbranch_execnz .LBB4_520
.LBB4_521:                              ;   in Loop: Header=BB4_3 Depth=1
	s_or_b32 exec_lo, exec_lo, s16
	global_load_b64 v[20:21], v1, s[12:13] offset:16
	s_mov_b32 s17, exec_lo
	s_mov_b32 s16, exec_lo
	v_mbcnt_lo_u32_b32 v0, s17, 0
	s_wait_xcnt 0x0
	s_delay_alu instid0(VALU_DEP_1)
	v_cmpx_eq_u32_e32 0, v0
	s_cbranch_execz .LBB4_523
; %bb.522:                              ;   in Loop: Header=BB4_3 Depth=1
	s_bcnt1_i32_b32 s17, s17
	s_delay_alu instid0(SALU_CYCLE_1)
	v_mov_b32_e32 v0, s17
	global_wb scope:SCOPE_SYS
	s_wait_loadcnt 0x0
	s_wait_storecnt 0x0
	global_atomic_add_u64 v[20:21], v[0:1], off offset:8 scope:SCOPE_SYS
.LBB4_523:                              ;   in Loop: Header=BB4_3 Depth=1
	s_wait_xcnt 0x0
	s_or_b32 exec_lo, exec_lo, s16
	s_wait_loadcnt 0x0
	global_load_b64 v[24:25], v[20:21], off offset:16
	s_wait_loadcnt 0x0
	v_cmp_eq_u64_e32 vcc_lo, 0, v[24:25]
	s_cbranch_vccnz .LBB4_525
; %bb.524:                              ;   in Loop: Header=BB4_3 Depth=1
	global_load_b32 v0, v[20:21], off offset:24
	s_wait_loadcnt 0x0
	v_readfirstlane_b32 s16, v0
	global_wb scope:SCOPE_SYS
	s_wait_storecnt 0x0
	s_wait_xcnt 0x0
	global_store_b64 v[24:25], v[0:1], off scope:SCOPE_SYS
	s_and_b32 m0, s16, 0xffffff
	s_sendmsg sendmsg(MSG_INTERRUPT)
.LBB4_525:                              ;   in Loop: Header=BB4_3 Depth=1
	s_wait_xcnt 0x0
	s_or_b32 exec_lo, exec_lo, s3
	v_mov_b32_e32 v51, v1
	s_delay_alu instid0(VALU_DEP_1)
	v_add_nc_u64_e32 v[16:17], v[16:17], v[50:51]
	s_branch .LBB4_529
.LBB4_526:                              ;   in Loop: Header=BB4_529 Depth=2
	s_wait_xcnt 0x0
	s_or_b32 exec_lo, exec_lo, s3
	s_delay_alu instid0(VALU_DEP_1)
	v_readfirstlane_b32 s3, v0
	s_cmp_eq_u32 s3, 0
	s_cbranch_scc1 .LBB4_528
; %bb.527:                              ;   in Loop: Header=BB4_529 Depth=2
	s_sleep 1
	s_cbranch_execnz .LBB4_529
	s_branch .LBB4_531
.LBB4_528:                              ;   in Loop: Header=BB4_3 Depth=1
	s_branch .LBB4_531
.LBB4_529:                              ;   Parent Loop BB4_3 Depth=1
                                        ; =>  This Inner Loop Header: Depth=2
	v_mov_b32_e32 v0, 1
	s_and_saveexec_b32 s3, s2
	s_cbranch_execz .LBB4_526
; %bb.530:                              ;   in Loop: Header=BB4_529 Depth=2
	global_load_b32 v0, v[6:7], off offset:20 scope:SCOPE_SYS
	s_wait_loadcnt 0x0
	global_inv scope:SCOPE_SYS
	v_and_b32_e32 v0, 1, v0
	s_branch .LBB4_526
.LBB4_531:                              ;   in Loop: Header=BB4_3 Depth=1
	global_load_b64 v[56:57], v[16:17], off
	s_wait_xcnt 0x0
	s_and_saveexec_b32 s16, s2
	s_cbranch_execz .LBB4_535
; %bb.532:                              ;   in Loop: Header=BB4_3 Depth=1
	s_clause 0x2
	global_load_b64 v[6:7], v1, s[12:13] offset:40
	global_load_b64 v[28:29], v1, s[12:13] offset:24 scope:SCOPE_SYS
	global_load_b64 v[16:17], v1, s[12:13]
	s_wait_loadcnt 0x2
	v_readfirstlane_b32 s18, v6
	v_readfirstlane_b32 s19, v7
	s_add_nc_u64 s[2:3], s[18:19], 1
	s_delay_alu instid0(SALU_CYCLE_1) | instskip(NEXT) | instid1(SALU_CYCLE_1)
	s_add_nc_u64 s[14:15], s[2:3], s[14:15]
	s_cmp_eq_u64 s[14:15], 0
	s_cselect_b32 s3, s3, s15
	s_cselect_b32 s2, s2, s14
	s_delay_alu instid0(SALU_CYCLE_1) | instskip(SKIP_1) | instid1(SALU_CYCLE_1)
	v_dual_mov_b32 v27, s3 :: v_dual_mov_b32 v26, s2
	s_and_b64 s[14:15], s[2:3], s[18:19]
	s_mul_u64 s[14:15], s[14:15], 24
	s_wait_loadcnt 0x0
	v_add_nc_u64_e32 v[6:7], s[14:15], v[16:17]
	global_store_b64 v[6:7], v[28:29], off
	global_wb scope:SCOPE_SYS
	s_wait_storecnt 0x0
	s_wait_xcnt 0x0
	global_atomic_cmpswap_b64 v[26:27], v1, v[26:29], s[12:13] offset:24 th:TH_ATOMIC_RETURN scope:SCOPE_SYS
	s_wait_loadcnt 0x0
	v_cmp_ne_u64_e32 vcc_lo, v[26:27], v[28:29]
	s_wait_xcnt 0x0
	s_and_b32 exec_lo, exec_lo, vcc_lo
	s_cbranch_execz .LBB4_535
; %bb.533:                              ;   in Loop: Header=BB4_3 Depth=1
	s_mov_b32 s14, 0
.LBB4_534:                              ;   Parent Loop BB4_3 Depth=1
                                        ; =>  This Inner Loop Header: Depth=2
	v_dual_mov_b32 v24, s2 :: v_dual_mov_b32 v25, s3
	s_sleep 1
	global_store_b64 v[6:7], v[26:27], off
	global_wb scope:SCOPE_SYS
	s_wait_storecnt 0x0
	s_wait_xcnt 0x0
	global_atomic_cmpswap_b64 v[16:17], v1, v[24:27], s[12:13] offset:24 th:TH_ATOMIC_RETURN scope:SCOPE_SYS
	s_wait_loadcnt 0x0
	v_cmp_eq_u64_e32 vcc_lo, v[16:17], v[26:27]
	s_wait_xcnt 0x0
	v_mov_b64_e32 v[26:27], v[16:17]
	s_or_b32 s14, vcc_lo, s14
	s_delay_alu instid0(SALU_CYCLE_1)
	s_and_not1_b32 exec_lo, exec_lo, s14
	s_cbranch_execnz .LBB4_534
.LBB4_535:                              ;   in Loop: Header=BB4_3 Depth=1
	s_or_b32 exec_lo, exec_lo, s16
	v_readfirstlane_b32 s2, v46
	v_mov_b64_e32 v[6:7], 0
	s_delay_alu instid0(VALU_DEP_2)
	v_cmp_eq_u32_e64 s2, s2, v46
	s_and_saveexec_b32 s3, s2
	s_cbranch_execz .LBB4_541
; %bb.536:                              ;   in Loop: Header=BB4_3 Depth=1
	global_load_b64 v[26:27], v1, s[12:13] offset:24 scope:SCOPE_SYS
	s_wait_loadcnt 0x0
	global_inv scope:SCOPE_SYS
	s_clause 0x1
	global_load_b64 v[6:7], v1, s[12:13] offset:40
	global_load_b64 v[16:17], v1, s[12:13]
	s_mov_b32 s14, exec_lo
	s_wait_loadcnt 0x1
	v_and_b32_e32 v6, v6, v26
	v_and_b32_e32 v7, v7, v27
	s_delay_alu instid0(VALU_DEP_1) | instskip(SKIP_1) | instid1(VALU_DEP_1)
	v_mul_u64_e32 v[6:7], 24, v[6:7]
	s_wait_loadcnt 0x0
	v_add_nc_u64_e32 v[6:7], v[16:17], v[6:7]
	global_load_b64 v[24:25], v[6:7], off scope:SCOPE_SYS
	s_wait_xcnt 0x0
	s_wait_loadcnt 0x0
	global_atomic_cmpswap_b64 v[6:7], v1, v[24:27], s[12:13] offset:24 th:TH_ATOMIC_RETURN scope:SCOPE_SYS
	s_wait_loadcnt 0x0
	global_inv scope:SCOPE_SYS
	s_wait_xcnt 0x0
	v_cmpx_ne_u64_e64 v[6:7], v[26:27]
	s_cbranch_execz .LBB4_540
; %bb.537:                              ;   in Loop: Header=BB4_3 Depth=1
	s_mov_b32 s15, 0
.LBB4_538:                              ;   Parent Loop BB4_3 Depth=1
                                        ; =>  This Inner Loop Header: Depth=2
	s_sleep 1
	s_clause 0x1
	global_load_b64 v[16:17], v1, s[12:13] offset:40
	global_load_b64 v[20:21], v1, s[12:13]
	v_mov_b64_e32 v[26:27], v[6:7]
	s_wait_loadcnt 0x1
	s_delay_alu instid0(VALU_DEP_1) | instskip(SKIP_1) | instid1(VALU_DEP_1)
	v_and_b32_e32 v0, v16, v26
	s_wait_loadcnt 0x0
	v_mad_nc_u64_u32 v[6:7], v0, 24, v[20:21]
	s_delay_alu instid0(VALU_DEP_3) | instskip(NEXT) | instid1(VALU_DEP_1)
	v_and_b32_e32 v0, v17, v27
	v_mad_u32 v7, v0, 24, v7
	global_load_b64 v[24:25], v[6:7], off scope:SCOPE_SYS
	s_wait_xcnt 0x0
	s_wait_loadcnt 0x0
	global_atomic_cmpswap_b64 v[6:7], v1, v[24:27], s[12:13] offset:24 th:TH_ATOMIC_RETURN scope:SCOPE_SYS
	s_wait_loadcnt 0x0
	global_inv scope:SCOPE_SYS
	v_cmp_eq_u64_e32 vcc_lo, v[6:7], v[26:27]
	s_or_b32 s15, vcc_lo, s15
	s_wait_xcnt 0x0
	s_and_not1_b32 exec_lo, exec_lo, s15
	s_cbranch_execnz .LBB4_538
; %bb.539:                              ;   in Loop: Header=BB4_3 Depth=1
	s_or_b32 exec_lo, exec_lo, s15
.LBB4_540:                              ;   in Loop: Header=BB4_3 Depth=1
	s_delay_alu instid0(SALU_CYCLE_1)
	s_or_b32 exec_lo, exec_lo, s14
.LBB4_541:                              ;   in Loop: Header=BB4_3 Depth=1
	s_delay_alu instid0(SALU_CYCLE_1)
	s_or_b32 exec_lo, exec_lo, s3
	s_clause 0x1
	global_load_b64 v[16:17], v1, s[12:13] offset:40
	global_load_b128 v[24:27], v1, s[12:13]
	v_readfirstlane_b32 s14, v6
	v_readfirstlane_b32 s15, v7
	s_mov_b32 s3, exec_lo
	s_wait_loadcnt 0x1
	v_and_b32_e32 v6, s14, v16
	v_and_b32_e32 v7, s15, v17
	s_delay_alu instid0(VALU_DEP_1) | instskip(SKIP_1) | instid1(VALU_DEP_1)
	v_mul_u64_e32 v[16:17], 24, v[6:7]
	s_wait_loadcnt 0x0
	v_add_nc_u64_e32 v[16:17], v[24:25], v[16:17]
	s_wait_xcnt 0x0
	s_and_saveexec_b32 s16, s2
	s_cbranch_execz .LBB4_543
; %bb.542:                              ;   in Loop: Header=BB4_3 Depth=1
	v_mov_b32_e32 v0, s3
	global_store_b128 v[16:17], v[0:3], off offset:8
.LBB4_543:                              ;   in Loop: Header=BB4_3 Depth=1
	s_wait_xcnt 0x0
	s_or_b32 exec_lo, exec_lo, s16
	v_lshlrev_b64_e32 v[6:7], 12, v[6:7]
	v_mov_b32_e32 v5, v1
	s_delay_alu instid0(VALU_DEP_2) | instskip(SKIP_3) | instid1(VALU_DEP_4)
	v_add_nc_u64_e32 v[20:21], v[26:27], v[6:7]
	v_mov_b64_e32 v[28:29], s[6:7]
	v_mov_b64_e32 v[26:27], s[4:5]
	v_dual_mov_b32 v6, v1 :: v_dual_mov_b32 v7, v1
	v_readfirstlane_b32 s16, v20
	v_readfirstlane_b32 s17, v21
	s_clause 0x3
	global_store_b128 v50, v[4:7], s[16:17]
	global_store_b128 v50, v[26:29], s[16:17] offset:16
	global_store_b128 v50, v[26:29], s[16:17] offset:32
	;; [unrolled: 1-line block ×3, first 2 shown]
	s_wait_xcnt 0x0
	s_and_saveexec_b32 s3, s2
	s_cbranch_execz .LBB4_551
; %bb.544:                              ;   in Loop: Header=BB4_3 Depth=1
	s_clause 0x1
	global_load_b64 v[28:29], v1, s[12:13] offset:32 scope:SCOPE_SYS
	global_load_b64 v[6:7], v1, s[12:13] offset:40
	s_mov_b32 s16, exec_lo
	v_dual_mov_b32 v26, s14 :: v_dual_mov_b32 v27, s15
	s_wait_loadcnt 0x0
	v_and_b32_e32 v7, s15, v7
	v_and_b32_e32 v6, s14, v6
	s_delay_alu instid0(VALU_DEP_1) | instskip(NEXT) | instid1(VALU_DEP_1)
	v_mul_u64_e32 v[6:7], 24, v[6:7]
	v_add_nc_u64_e32 v[6:7], v[24:25], v[6:7]
	global_store_b64 v[6:7], v[28:29], off
	global_wb scope:SCOPE_SYS
	s_wait_storecnt 0x0
	s_wait_xcnt 0x0
	global_atomic_cmpswap_b64 v[26:27], v1, v[26:29], s[12:13] offset:32 th:TH_ATOMIC_RETURN scope:SCOPE_SYS
	s_wait_loadcnt 0x0
	s_wait_xcnt 0x0
	v_cmpx_ne_u64_e64 v[26:27], v[28:29]
	s_cbranch_execz .LBB4_547
; %bb.545:                              ;   in Loop: Header=BB4_3 Depth=1
	s_mov_b32 s17, 0
.LBB4_546:                              ;   Parent Loop BB4_3 Depth=1
                                        ; =>  This Inner Loop Header: Depth=2
	v_dual_mov_b32 v24, s14 :: v_dual_mov_b32 v25, s15
	s_sleep 1
	global_store_b64 v[6:7], v[26:27], off
	global_wb scope:SCOPE_SYS
	s_wait_storecnt 0x0
	s_wait_xcnt 0x0
	global_atomic_cmpswap_b64 v[24:25], v1, v[24:27], s[12:13] offset:32 th:TH_ATOMIC_RETURN scope:SCOPE_SYS
	s_wait_loadcnt 0x0
	v_cmp_eq_u64_e32 vcc_lo, v[24:25], v[26:27]
	s_wait_xcnt 0x0
	v_mov_b64_e32 v[26:27], v[24:25]
	s_or_b32 s17, vcc_lo, s17
	s_delay_alu instid0(SALU_CYCLE_1)
	s_and_not1_b32 exec_lo, exec_lo, s17
	s_cbranch_execnz .LBB4_546
.LBB4_547:                              ;   in Loop: Header=BB4_3 Depth=1
	s_or_b32 exec_lo, exec_lo, s16
	global_load_b64 v[6:7], v1, s[12:13] offset:16
	s_mov_b32 s17, exec_lo
	s_mov_b32 s16, exec_lo
	v_mbcnt_lo_u32_b32 v0, s17, 0
	s_wait_xcnt 0x0
	s_delay_alu instid0(VALU_DEP_1)
	v_cmpx_eq_u32_e32 0, v0
	s_cbranch_execz .LBB4_549
; %bb.548:                              ;   in Loop: Header=BB4_3 Depth=1
	s_bcnt1_i32_b32 s17, s17
	s_delay_alu instid0(SALU_CYCLE_1)
	v_mov_b32_e32 v0, s17
	global_wb scope:SCOPE_SYS
	s_wait_loadcnt 0x0
	s_wait_storecnt 0x0
	global_atomic_add_u64 v[6:7], v[0:1], off offset:8 scope:SCOPE_SYS
.LBB4_549:                              ;   in Loop: Header=BB4_3 Depth=1
	s_wait_xcnt 0x0
	s_or_b32 exec_lo, exec_lo, s16
	s_wait_loadcnt 0x0
	global_load_b64 v[24:25], v[6:7], off offset:16
	s_wait_loadcnt 0x0
	v_cmp_eq_u64_e32 vcc_lo, 0, v[24:25]
	s_cbranch_vccnz .LBB4_551
; %bb.550:                              ;   in Loop: Header=BB4_3 Depth=1
	global_load_b32 v0, v[6:7], off offset:24
	s_wait_loadcnt 0x0
	v_readfirstlane_b32 s16, v0
	global_wb scope:SCOPE_SYS
	s_wait_storecnt 0x0
	s_wait_xcnt 0x0
	global_store_b64 v[24:25], v[0:1], off scope:SCOPE_SYS
	s_and_b32 m0, s16, 0xffffff
	s_sendmsg sendmsg(MSG_INTERRUPT)
.LBB4_551:                              ;   in Loop: Header=BB4_3 Depth=1
	s_wait_xcnt 0x0
	s_or_b32 exec_lo, exec_lo, s3
	v_mov_b32_e32 v51, v1
	s_delay_alu instid0(VALU_DEP_1)
	v_add_nc_u64_e32 v[6:7], v[20:21], v[50:51]
	s_branch .LBB4_555
.LBB4_552:                              ;   in Loop: Header=BB4_555 Depth=2
	s_wait_xcnt 0x0
	s_or_b32 exec_lo, exec_lo, s3
	s_delay_alu instid0(VALU_DEP_1)
	v_readfirstlane_b32 s3, v0
	s_cmp_eq_u32 s3, 0
	s_cbranch_scc1 .LBB4_554
; %bb.553:                              ;   in Loop: Header=BB4_555 Depth=2
	s_sleep 1
	s_cbranch_execnz .LBB4_555
	s_branch .LBB4_557
.LBB4_554:                              ;   in Loop: Header=BB4_3 Depth=1
	s_branch .LBB4_557
.LBB4_555:                              ;   Parent Loop BB4_3 Depth=1
                                        ; =>  This Inner Loop Header: Depth=2
	v_mov_b32_e32 v0, 1
	s_and_saveexec_b32 s3, s2
	s_cbranch_execz .LBB4_552
; %bb.556:                              ;   in Loop: Header=BB4_555 Depth=2
	global_load_b32 v0, v[16:17], off offset:20 scope:SCOPE_SYS
	s_wait_loadcnt 0x0
	global_inv scope:SCOPE_SYS
	v_and_b32_e32 v0, 1, v0
	s_branch .LBB4_552
.LBB4_557:                              ;   in Loop: Header=BB4_3 Depth=1
	global_load_b64 v[28:29], v[6:7], off
	s_wait_xcnt 0x0
	s_and_saveexec_b32 s16, s2
	s_cbranch_execz .LBB4_561
; %bb.558:                              ;   in Loop: Header=BB4_3 Depth=1
	s_clause 0x2
	global_load_b64 v[6:7], v1, s[12:13] offset:40
	global_load_b64 v[32:33], v1, s[12:13] offset:24 scope:SCOPE_SYS
	global_load_b64 v[16:17], v1, s[12:13]
	s_wait_loadcnt 0x2
	v_readfirstlane_b32 s18, v6
	v_readfirstlane_b32 s19, v7
	s_add_nc_u64 s[2:3], s[18:19], 1
	s_delay_alu instid0(SALU_CYCLE_1) | instskip(NEXT) | instid1(SALU_CYCLE_1)
	s_add_nc_u64 s[14:15], s[2:3], s[14:15]
	s_cmp_eq_u64 s[14:15], 0
	s_cselect_b32 s3, s3, s15
	s_cselect_b32 s2, s2, s14
	s_delay_alu instid0(SALU_CYCLE_1) | instskip(SKIP_1) | instid1(SALU_CYCLE_1)
	v_dual_mov_b32 v31, s3 :: v_dual_mov_b32 v30, s2
	s_and_b64 s[14:15], s[2:3], s[18:19]
	s_mul_u64 s[14:15], s[14:15], 24
	s_wait_loadcnt 0x0
	v_add_nc_u64_e32 v[6:7], s[14:15], v[16:17]
	global_store_b64 v[6:7], v[32:33], off
	global_wb scope:SCOPE_SYS
	s_wait_storecnt 0x0
	s_wait_xcnt 0x0
	global_atomic_cmpswap_b64 v[26:27], v1, v[30:33], s[12:13] offset:24 th:TH_ATOMIC_RETURN scope:SCOPE_SYS
	s_wait_loadcnt 0x0
	v_cmp_ne_u64_e32 vcc_lo, v[26:27], v[32:33]
	s_wait_xcnt 0x0
	s_and_b32 exec_lo, exec_lo, vcc_lo
	s_cbranch_execz .LBB4_561
; %bb.559:                              ;   in Loop: Header=BB4_3 Depth=1
	s_mov_b32 s14, 0
.LBB4_560:                              ;   Parent Loop BB4_3 Depth=1
                                        ; =>  This Inner Loop Header: Depth=2
	v_dual_mov_b32 v24, s2 :: v_dual_mov_b32 v25, s3
	s_sleep 1
	global_store_b64 v[6:7], v[26:27], off
	global_wb scope:SCOPE_SYS
	s_wait_storecnt 0x0
	s_wait_xcnt 0x0
	global_atomic_cmpswap_b64 v[16:17], v1, v[24:27], s[12:13] offset:24 th:TH_ATOMIC_RETURN scope:SCOPE_SYS
	s_wait_loadcnt 0x0
	v_cmp_eq_u64_e32 vcc_lo, v[16:17], v[26:27]
	s_wait_xcnt 0x0
	v_mov_b64_e32 v[26:27], v[16:17]
	s_or_b32 s14, vcc_lo, s14
	s_delay_alu instid0(SALU_CYCLE_1)
	s_and_not1_b32 exec_lo, exec_lo, s14
	s_cbranch_execnz .LBB4_560
.LBB4_561:                              ;   in Loop: Header=BB4_3 Depth=1
	s_or_b32 exec_lo, exec_lo, s16
	s_delay_alu instid0(SALU_CYCLE_1)
	s_and_b32 vcc_lo, exec_lo, s25
	s_cbranch_vccz .LBB4_719
; %bb.562:                              ;   in Loop: Header=BB4_3 Depth=1
	s_wait_loadcnt 0x0
	v_dual_mov_b32 v25, v29 :: v_dual_bitop2_b32 v6, 2, v28 bitop3:0x40
	v_and_b32_e32 v24, -3, v28
	s_mov_b64 s[16:17], 6
	s_get_pc_i64 s[14:15]
	s_add_nc_u64 s[14:15], s[14:15], .str.7@rel64+4
	s_branch .LBB4_564
.LBB4_563:                              ;   in Loop: Header=BB4_564 Depth=2
	s_or_b32 exec_lo, exec_lo, s22
	s_sub_nc_u64 s[16:17], s[16:17], s[18:19]
	s_add_nc_u64 s[14:15], s[14:15], s[18:19]
	s_cmp_lg_u64 s[16:17], 0
	s_cbranch_scc0 .LBB4_639
.LBB4_564:                              ;   Parent Loop BB4_3 Depth=1
                                        ; =>  This Loop Header: Depth=2
                                        ;       Child Loop BB4_567 Depth 3
                                        ;       Child Loop BB4_574 Depth 3
	;; [unrolled: 1-line block ×11, first 2 shown]
	v_min_u64 v[16:17], s[16:17], 56
	v_cmp_gt_u64_e64 s2, s[16:17], 7
	s_and_b32 vcc_lo, exec_lo, s2
	v_readfirstlane_b32 s18, v16
	v_readfirstlane_b32 s19, v17
	s_cbranch_vccnz .LBB4_569
; %bb.565:                              ;   in Loop: Header=BB4_564 Depth=2
	v_mov_b64_e32 v[26:27], 0
	s_cmp_eq_u64 s[16:17], 0
	s_cbranch_scc1 .LBB4_568
; %bb.566:                              ;   in Loop: Header=BB4_564 Depth=2
	s_mov_b64 s[2:3], 0
	s_mov_b64 s[20:21], 0
.LBB4_567:                              ;   Parent Loop BB4_3 Depth=1
                                        ;     Parent Loop BB4_564 Depth=2
                                        ; =>    This Inner Loop Header: Depth=3
	s_wait_xcnt 0x0
	s_add_nc_u64 s[22:23], s[14:15], s[20:21]
	s_add_nc_u64 s[20:21], s[20:21], 1
	global_load_u8 v0, v1, s[22:23]
	s_cmp_lg_u32 s18, s20
	s_wait_loadcnt 0x0
	v_and_b32_e32 v0, 0xffff, v0
	s_delay_alu instid0(VALU_DEP_1) | instskip(SKIP_1) | instid1(VALU_DEP_1)
	v_lshlrev_b64_e32 v[16:17], s2, v[0:1]
	s_add_nc_u64 s[2:3], s[2:3], 8
	v_or_b32_e32 v26, v16, v26
	s_delay_alu instid0(VALU_DEP_2)
	v_or_b32_e32 v27, v17, v27
	s_cbranch_scc1 .LBB4_567
.LBB4_568:                              ;   in Loop: Header=BB4_564 Depth=2
	s_mov_b64 s[2:3], s[14:15]
	s_mov_b32 s28, 0
	s_cbranch_execz .LBB4_570
	s_branch .LBB4_571
.LBB4_569:                              ;   in Loop: Header=BB4_564 Depth=2
	s_add_nc_u64 s[2:3], s[14:15], 8
	s_mov_b32 s28, 0
.LBB4_570:                              ;   in Loop: Header=BB4_564 Depth=2
	global_load_b64 v[26:27], v1, s[14:15]
	s_add_co_i32 s28, s18, -8
.LBB4_571:                              ;   in Loop: Header=BB4_564 Depth=2
	s_delay_alu instid0(SALU_CYCLE_1)
	s_cmp_gt_u32 s28, 7
	s_cbranch_scc1 .LBB4_576
; %bb.572:                              ;   in Loop: Header=BB4_564 Depth=2
	v_mov_b64_e32 v[30:31], 0
	s_cmp_eq_u32 s28, 0
	s_cbranch_scc1 .LBB4_575
; %bb.573:                              ;   in Loop: Header=BB4_564 Depth=2
	s_mov_b64 s[20:21], 0
	s_wait_xcnt 0x0
	s_mov_b64 s[22:23], 0
.LBB4_574:                              ;   Parent Loop BB4_3 Depth=1
                                        ;     Parent Loop BB4_564 Depth=2
                                        ; =>    This Inner Loop Header: Depth=3
	s_wait_xcnt 0x0
	s_add_nc_u64 s[30:31], s[2:3], s[22:23]
	s_add_nc_u64 s[22:23], s[22:23], 1
	global_load_u8 v0, v1, s[30:31]
	s_cmp_lg_u32 s28, s22
	s_wait_loadcnt 0x0
	v_and_b32_e32 v0, 0xffff, v0
	s_delay_alu instid0(VALU_DEP_1) | instskip(SKIP_1) | instid1(VALU_DEP_1)
	v_lshlrev_b64_e32 v[16:17], s20, v[0:1]
	s_add_nc_u64 s[20:21], s[20:21], 8
	v_or_b32_e32 v30, v16, v30
	s_delay_alu instid0(VALU_DEP_2)
	v_or_b32_e32 v31, v17, v31
	s_cbranch_scc1 .LBB4_574
.LBB4_575:                              ;   in Loop: Header=BB4_564 Depth=2
	s_wait_xcnt 0x0
	s_mov_b64 s[20:21], s[2:3]
	s_mov_b32 s29, 0
	s_cbranch_execz .LBB4_577
	s_branch .LBB4_578
.LBB4_576:                              ;   in Loop: Header=BB4_564 Depth=2
	s_add_nc_u64 s[20:21], s[2:3], 8
	s_wait_xcnt 0x0
                                        ; implicit-def: $vgpr30_vgpr31
	s_mov_b32 s29, 0
.LBB4_577:                              ;   in Loop: Header=BB4_564 Depth=2
	global_load_b64 v[30:31], v1, s[2:3]
	s_add_co_i32 s29, s28, -8
.LBB4_578:                              ;   in Loop: Header=BB4_564 Depth=2
	s_delay_alu instid0(SALU_CYCLE_1)
	s_cmp_gt_u32 s29, 7
	s_cbranch_scc1 .LBB4_583
; %bb.579:                              ;   in Loop: Header=BB4_564 Depth=2
	v_mov_b64_e32 v[32:33], 0
	s_cmp_eq_u32 s29, 0
	s_cbranch_scc1 .LBB4_582
; %bb.580:                              ;   in Loop: Header=BB4_564 Depth=2
	s_wait_xcnt 0x0
	s_mov_b64 s[2:3], 0
	s_mov_b64 s[22:23], 0
.LBB4_581:                              ;   Parent Loop BB4_3 Depth=1
                                        ;     Parent Loop BB4_564 Depth=2
                                        ; =>    This Inner Loop Header: Depth=3
	s_wait_xcnt 0x0
	s_add_nc_u64 s[30:31], s[20:21], s[22:23]
	s_add_nc_u64 s[22:23], s[22:23], 1
	global_load_u8 v0, v1, s[30:31]
	s_cmp_lg_u32 s29, s22
	s_wait_loadcnt 0x0
	v_and_b32_e32 v0, 0xffff, v0
	s_delay_alu instid0(VALU_DEP_1) | instskip(SKIP_1) | instid1(VALU_DEP_1)
	v_lshlrev_b64_e32 v[16:17], s2, v[0:1]
	s_add_nc_u64 s[2:3], s[2:3], 8
	v_or_b32_e32 v32, v16, v32
	s_delay_alu instid0(VALU_DEP_2)
	v_or_b32_e32 v33, v17, v33
	s_cbranch_scc1 .LBB4_581
.LBB4_582:                              ;   in Loop: Header=BB4_564 Depth=2
	s_wait_xcnt 0x0
	s_mov_b64 s[2:3], s[20:21]
	s_mov_b32 s28, 0
	s_cbranch_execz .LBB4_584
	s_branch .LBB4_585
.LBB4_583:                              ;   in Loop: Header=BB4_564 Depth=2
	s_wait_xcnt 0x0
	s_add_nc_u64 s[2:3], s[20:21], 8
	s_mov_b32 s28, 0
.LBB4_584:                              ;   in Loop: Header=BB4_564 Depth=2
	global_load_b64 v[32:33], v1, s[20:21]
	s_add_co_i32 s28, s29, -8
.LBB4_585:                              ;   in Loop: Header=BB4_564 Depth=2
	s_delay_alu instid0(SALU_CYCLE_1)
	s_cmp_gt_u32 s28, 7
	s_cbranch_scc1 .LBB4_590
; %bb.586:                              ;   in Loop: Header=BB4_564 Depth=2
	v_mov_b64_e32 v[34:35], 0
	s_cmp_eq_u32 s28, 0
	s_cbranch_scc1 .LBB4_589
; %bb.587:                              ;   in Loop: Header=BB4_564 Depth=2
	s_wait_xcnt 0x0
	s_mov_b64 s[20:21], 0
	s_mov_b64 s[22:23], 0
.LBB4_588:                              ;   Parent Loop BB4_3 Depth=1
                                        ;     Parent Loop BB4_564 Depth=2
                                        ; =>    This Inner Loop Header: Depth=3
	s_wait_xcnt 0x0
	s_add_nc_u64 s[30:31], s[2:3], s[22:23]
	s_add_nc_u64 s[22:23], s[22:23], 1
	global_load_u8 v0, v1, s[30:31]
	s_cmp_lg_u32 s28, s22
	s_wait_loadcnt 0x0
	v_and_b32_e32 v0, 0xffff, v0
	s_delay_alu instid0(VALU_DEP_1) | instskip(SKIP_1) | instid1(VALU_DEP_1)
	v_lshlrev_b64_e32 v[16:17], s20, v[0:1]
	s_add_nc_u64 s[20:21], s[20:21], 8
	v_or_b32_e32 v34, v16, v34
	s_delay_alu instid0(VALU_DEP_2)
	v_or_b32_e32 v35, v17, v35
	s_cbranch_scc1 .LBB4_588
.LBB4_589:                              ;   in Loop: Header=BB4_564 Depth=2
	s_wait_xcnt 0x0
	s_mov_b64 s[20:21], s[2:3]
	s_mov_b32 s29, 0
	s_cbranch_execz .LBB4_591
	s_branch .LBB4_592
.LBB4_590:                              ;   in Loop: Header=BB4_564 Depth=2
	s_wait_xcnt 0x0
	s_add_nc_u64 s[20:21], s[2:3], 8
                                        ; implicit-def: $vgpr34_vgpr35
	s_mov_b32 s29, 0
.LBB4_591:                              ;   in Loop: Header=BB4_564 Depth=2
	global_load_b64 v[34:35], v1, s[2:3]
	s_add_co_i32 s29, s28, -8
.LBB4_592:                              ;   in Loop: Header=BB4_564 Depth=2
	s_delay_alu instid0(SALU_CYCLE_1)
	s_cmp_gt_u32 s29, 7
	s_cbranch_scc1 .LBB4_597
; %bb.593:                              ;   in Loop: Header=BB4_564 Depth=2
	v_mov_b64_e32 v[36:37], 0
	s_cmp_eq_u32 s29, 0
	s_cbranch_scc1 .LBB4_596
; %bb.594:                              ;   in Loop: Header=BB4_564 Depth=2
	s_wait_xcnt 0x0
	s_mov_b64 s[2:3], 0
	s_mov_b64 s[22:23], 0
.LBB4_595:                              ;   Parent Loop BB4_3 Depth=1
                                        ;     Parent Loop BB4_564 Depth=2
                                        ; =>    This Inner Loop Header: Depth=3
	s_wait_xcnt 0x0
	s_add_nc_u64 s[30:31], s[20:21], s[22:23]
	s_add_nc_u64 s[22:23], s[22:23], 1
	global_load_u8 v0, v1, s[30:31]
	s_cmp_lg_u32 s29, s22
	s_wait_loadcnt 0x0
	v_and_b32_e32 v0, 0xffff, v0
	s_delay_alu instid0(VALU_DEP_1) | instskip(SKIP_1) | instid1(VALU_DEP_1)
	v_lshlrev_b64_e32 v[16:17], s2, v[0:1]
	s_add_nc_u64 s[2:3], s[2:3], 8
	v_or_b32_e32 v36, v16, v36
	s_delay_alu instid0(VALU_DEP_2)
	v_or_b32_e32 v37, v17, v37
	s_cbranch_scc1 .LBB4_595
.LBB4_596:                              ;   in Loop: Header=BB4_564 Depth=2
	s_wait_xcnt 0x0
	s_mov_b64 s[2:3], s[20:21]
	s_mov_b32 s28, 0
	s_cbranch_execz .LBB4_598
	s_branch .LBB4_599
.LBB4_597:                              ;   in Loop: Header=BB4_564 Depth=2
	s_wait_xcnt 0x0
	s_add_nc_u64 s[2:3], s[20:21], 8
	s_mov_b32 s28, 0
.LBB4_598:                              ;   in Loop: Header=BB4_564 Depth=2
	global_load_b64 v[36:37], v1, s[20:21]
	s_add_co_i32 s28, s29, -8
.LBB4_599:                              ;   in Loop: Header=BB4_564 Depth=2
	s_delay_alu instid0(SALU_CYCLE_1)
	s_cmp_gt_u32 s28, 7
	s_cbranch_scc1 .LBB4_604
; %bb.600:                              ;   in Loop: Header=BB4_564 Depth=2
	v_mov_b64_e32 v[38:39], 0
	s_cmp_eq_u32 s28, 0
	s_cbranch_scc1 .LBB4_603
; %bb.601:                              ;   in Loop: Header=BB4_564 Depth=2
	s_wait_xcnt 0x0
	s_mov_b64 s[20:21], 0
	s_mov_b64 s[22:23], 0
.LBB4_602:                              ;   Parent Loop BB4_3 Depth=1
                                        ;     Parent Loop BB4_564 Depth=2
                                        ; =>    This Inner Loop Header: Depth=3
	s_wait_xcnt 0x0
	s_add_nc_u64 s[30:31], s[2:3], s[22:23]
	s_add_nc_u64 s[22:23], s[22:23], 1
	global_load_u8 v0, v1, s[30:31]
	s_cmp_lg_u32 s28, s22
	s_wait_loadcnt 0x0
	v_and_b32_e32 v0, 0xffff, v0
	s_delay_alu instid0(VALU_DEP_1) | instskip(SKIP_1) | instid1(VALU_DEP_1)
	v_lshlrev_b64_e32 v[16:17], s20, v[0:1]
	s_add_nc_u64 s[20:21], s[20:21], 8
	v_or_b32_e32 v38, v16, v38
	s_delay_alu instid0(VALU_DEP_2)
	v_or_b32_e32 v39, v17, v39
	s_cbranch_scc1 .LBB4_602
.LBB4_603:                              ;   in Loop: Header=BB4_564 Depth=2
	s_wait_xcnt 0x0
	s_mov_b64 s[20:21], s[2:3]
	s_mov_b32 s29, 0
	s_cbranch_execz .LBB4_605
	s_branch .LBB4_606
.LBB4_604:                              ;   in Loop: Header=BB4_564 Depth=2
	s_wait_xcnt 0x0
	s_add_nc_u64 s[20:21], s[2:3], 8
                                        ; implicit-def: $vgpr38_vgpr39
	s_mov_b32 s29, 0
.LBB4_605:                              ;   in Loop: Header=BB4_564 Depth=2
	global_load_b64 v[38:39], v1, s[2:3]
	s_add_co_i32 s29, s28, -8
.LBB4_606:                              ;   in Loop: Header=BB4_564 Depth=2
	s_delay_alu instid0(SALU_CYCLE_1)
	s_cmp_gt_u32 s29, 7
	s_cbranch_scc1 .LBB4_611
; %bb.607:                              ;   in Loop: Header=BB4_564 Depth=2
	v_mov_b64_e32 v[40:41], 0
	s_cmp_eq_u32 s29, 0
	s_cbranch_scc1 .LBB4_610
; %bb.608:                              ;   in Loop: Header=BB4_564 Depth=2
	s_wait_xcnt 0x0
	s_mov_b64 s[2:3], 0
	s_mov_b64 s[22:23], s[20:21]
.LBB4_609:                              ;   Parent Loop BB4_3 Depth=1
                                        ;     Parent Loop BB4_564 Depth=2
                                        ; =>    This Inner Loop Header: Depth=3
	global_load_u8 v0, v1, s[22:23]
	s_add_co_i32 s29, s29, -1
	s_wait_xcnt 0x0
	s_add_nc_u64 s[22:23], s[22:23], 1
	s_cmp_lg_u32 s29, 0
	s_wait_loadcnt 0x0
	v_and_b32_e32 v0, 0xffff, v0
	s_delay_alu instid0(VALU_DEP_1) | instskip(SKIP_1) | instid1(VALU_DEP_1)
	v_lshlrev_b64_e32 v[16:17], s2, v[0:1]
	s_add_nc_u64 s[2:3], s[2:3], 8
	v_or_b32_e32 v40, v16, v40
	s_delay_alu instid0(VALU_DEP_2)
	v_or_b32_e32 v41, v17, v41
	s_cbranch_scc1 .LBB4_609
.LBB4_610:                              ;   in Loop: Header=BB4_564 Depth=2
	s_wait_xcnt 0x0
	s_cbranch_execz .LBB4_612
	s_branch .LBB4_613
.LBB4_611:                              ;   in Loop: Header=BB4_564 Depth=2
	s_wait_xcnt 0x0
.LBB4_612:                              ;   in Loop: Header=BB4_564 Depth=2
	global_load_b64 v[40:41], v1, s[20:21]
.LBB4_613:                              ;   in Loop: Header=BB4_564 Depth=2
	v_readfirstlane_b32 s2, v46
	v_mov_b64_e32 v[16:17], 0
	s_delay_alu instid0(VALU_DEP_2)
	v_cmp_eq_u32_e64 s2, s2, v46
	s_wait_xcnt 0x0
	s_and_saveexec_b32 s3, s2
	s_cbranch_execz .LBB4_619
; %bb.614:                              ;   in Loop: Header=BB4_564 Depth=2
	global_load_b64 v[44:45], v1, s[12:13] offset:24 scope:SCOPE_SYS
	s_wait_loadcnt 0x0
	global_inv scope:SCOPE_SYS
	s_clause 0x1
	global_load_b64 v[16:17], v1, s[12:13] offset:40
	global_load_b64 v[20:21], v1, s[12:13]
	s_mov_b32 s20, exec_lo
	s_wait_loadcnt 0x1
	v_and_b32_e32 v16, v16, v44
	v_and_b32_e32 v17, v17, v45
	s_delay_alu instid0(VALU_DEP_1) | instskip(SKIP_1) | instid1(VALU_DEP_1)
	v_mul_u64_e32 v[16:17], 24, v[16:17]
	s_wait_loadcnt 0x0
	v_add_nc_u64_e32 v[16:17], v[20:21], v[16:17]
	global_load_b64 v[42:43], v[16:17], off scope:SCOPE_SYS
	s_wait_xcnt 0x0
	s_wait_loadcnt 0x0
	global_atomic_cmpswap_b64 v[16:17], v1, v[42:45], s[12:13] offset:24 th:TH_ATOMIC_RETURN scope:SCOPE_SYS
	s_wait_loadcnt 0x0
	global_inv scope:SCOPE_SYS
	s_wait_xcnt 0x0
	v_cmpx_ne_u64_e64 v[16:17], v[44:45]
	s_cbranch_execz .LBB4_618
; %bb.615:                              ;   in Loop: Header=BB4_564 Depth=2
	s_mov_b32 s21, 0
.LBB4_616:                              ;   Parent Loop BB4_3 Depth=1
                                        ;     Parent Loop BB4_564 Depth=2
                                        ; =>    This Inner Loop Header: Depth=3
	s_sleep 1
	s_clause 0x1
	global_load_b64 v[20:21], v1, s[12:13] offset:40
	global_load_b64 v[42:43], v1, s[12:13]
	v_mov_b64_e32 v[44:45], v[16:17]
	s_wait_loadcnt 0x1
	s_delay_alu instid0(VALU_DEP_1) | instskip(SKIP_1) | instid1(VALU_DEP_1)
	v_and_b32_e32 v0, v20, v44
	s_wait_loadcnt 0x0
	v_mad_nc_u64_u32 v[16:17], v0, 24, v[42:43]
	s_delay_alu instid0(VALU_DEP_3) | instskip(NEXT) | instid1(VALU_DEP_1)
	v_and_b32_e32 v0, v21, v45
	v_mad_u32 v17, v0, 24, v17
	global_load_b64 v[42:43], v[16:17], off scope:SCOPE_SYS
	s_wait_xcnt 0x0
	s_wait_loadcnt 0x0
	global_atomic_cmpswap_b64 v[16:17], v1, v[42:45], s[12:13] offset:24 th:TH_ATOMIC_RETURN scope:SCOPE_SYS
	s_wait_loadcnt 0x0
	global_inv scope:SCOPE_SYS
	v_cmp_eq_u64_e32 vcc_lo, v[16:17], v[44:45]
	s_or_b32 s21, vcc_lo, s21
	s_wait_xcnt 0x0
	s_and_not1_b32 exec_lo, exec_lo, s21
	s_cbranch_execnz .LBB4_616
; %bb.617:                              ;   in Loop: Header=BB4_564 Depth=2
	s_or_b32 exec_lo, exec_lo, s21
.LBB4_618:                              ;   in Loop: Header=BB4_564 Depth=2
	s_delay_alu instid0(SALU_CYCLE_1)
	s_or_b32 exec_lo, exec_lo, s20
.LBB4_619:                              ;   in Loop: Header=BB4_564 Depth=2
	s_delay_alu instid0(SALU_CYCLE_1)
	s_or_b32 exec_lo, exec_lo, s3
	s_clause 0x1
	global_load_b64 v[20:21], v1, s[12:13] offset:40
	global_load_b128 v[42:45], v1, s[12:13]
	v_readfirstlane_b32 s20, v16
	v_readfirstlane_b32 s21, v17
	s_mov_b32 s3, exec_lo
	s_wait_loadcnt 0x1
	v_and_b32_e32 v20, s20, v20
	v_and_b32_e32 v21, s21, v21
	s_delay_alu instid0(VALU_DEP_1) | instskip(SKIP_1) | instid1(VALU_DEP_1)
	v_mul_u64_e32 v[16:17], 24, v[20:21]
	s_wait_loadcnt 0x0
	v_add_nc_u64_e32 v[16:17], v[42:43], v[16:17]
	s_wait_xcnt 0x0
	s_and_saveexec_b32 s22, s2
	s_cbranch_execz .LBB4_621
; %bb.620:                              ;   in Loop: Header=BB4_564 Depth=2
	v_mov_b32_e32 v0, s3
	global_store_b128 v[16:17], v[0:3], off offset:8
.LBB4_621:                              ;   in Loop: Header=BB4_564 Depth=2
	s_wait_xcnt 0x0
	s_or_b32 exec_lo, exec_lo, s22
	v_cmp_lt_u64_e64 vcc_lo, s[16:17], 57
	v_lshlrev_b64_e32 v[20:21], 12, v[20:21]
	v_and_b32_e32 v5, 0xffffff1f, v24
	s_lshl_b32 s3, s18, 2
	s_delay_alu instid0(SALU_CYCLE_1) | instskip(SKIP_1) | instid1(VALU_DEP_3)
	s_add_co_i32 s3, s3, 28
	v_cndmask_b32_e32 v0, 0, v6, vcc_lo
	v_add_nc_u64_e32 v[20:21], v[44:45], v[20:21]
	s_delay_alu instid0(VALU_DEP_2) | instskip(NEXT) | instid1(VALU_DEP_2)
	v_or_b32_e32 v0, v5, v0
	v_readfirstlane_b32 s22, v20
	s_delay_alu instid0(VALU_DEP_3) | instskip(NEXT) | instid1(VALU_DEP_3)
	v_readfirstlane_b32 s23, v21
	v_and_or_b32 v24, 0x1e0, s3, v0
	s_clause 0x3
	global_store_b128 v50, v[24:27], s[22:23]
	global_store_b128 v50, v[30:33], s[22:23] offset:16
	global_store_b128 v50, v[34:37], s[22:23] offset:32
	global_store_b128 v50, v[38:41], s[22:23] offset:48
	s_wait_xcnt 0x0
	s_and_saveexec_b32 s3, s2
	s_cbranch_execz .LBB4_629
; %bb.622:                              ;   in Loop: Header=BB4_564 Depth=2
	s_clause 0x1
	global_load_b64 v[34:35], v1, s[12:13] offset:32 scope:SCOPE_SYS
	global_load_b64 v[24:25], v1, s[12:13] offset:40
	s_mov_b32 s22, exec_lo
	v_dual_mov_b32 v32, s20 :: v_dual_mov_b32 v33, s21
	s_wait_loadcnt 0x0
	v_and_b32_e32 v25, s21, v25
	v_and_b32_e32 v24, s20, v24
	s_delay_alu instid0(VALU_DEP_1) | instskip(NEXT) | instid1(VALU_DEP_1)
	v_mul_u64_e32 v[24:25], 24, v[24:25]
	v_add_nc_u64_e32 v[30:31], v[42:43], v[24:25]
	global_store_b64 v[30:31], v[34:35], off
	global_wb scope:SCOPE_SYS
	s_wait_storecnt 0x0
	s_wait_xcnt 0x0
	global_atomic_cmpswap_b64 v[26:27], v1, v[32:35], s[12:13] offset:32 th:TH_ATOMIC_RETURN scope:SCOPE_SYS
	s_wait_loadcnt 0x0
	v_cmpx_ne_u64_e64 v[26:27], v[34:35]
	s_cbranch_execz .LBB4_625
; %bb.623:                              ;   in Loop: Header=BB4_564 Depth=2
	s_mov_b32 s23, 0
.LBB4_624:                              ;   Parent Loop BB4_3 Depth=1
                                        ;     Parent Loop BB4_564 Depth=2
                                        ; =>    This Inner Loop Header: Depth=3
	v_dual_mov_b32 v24, s20 :: v_dual_mov_b32 v25, s21
	s_sleep 1
	global_store_b64 v[30:31], v[26:27], off
	global_wb scope:SCOPE_SYS
	s_wait_storecnt 0x0
	s_wait_xcnt 0x0
	global_atomic_cmpswap_b64 v[24:25], v1, v[24:27], s[12:13] offset:32 th:TH_ATOMIC_RETURN scope:SCOPE_SYS
	s_wait_loadcnt 0x0
	v_cmp_eq_u64_e32 vcc_lo, v[24:25], v[26:27]
	v_mov_b64_e32 v[26:27], v[24:25]
	s_or_b32 s23, vcc_lo, s23
	s_delay_alu instid0(SALU_CYCLE_1)
	s_and_not1_b32 exec_lo, exec_lo, s23
	s_cbranch_execnz .LBB4_624
.LBB4_625:                              ;   in Loop: Header=BB4_564 Depth=2
	s_or_b32 exec_lo, exec_lo, s22
	global_load_b64 v[24:25], v1, s[12:13] offset:16
	s_mov_b32 s23, exec_lo
	s_mov_b32 s22, exec_lo
	v_mbcnt_lo_u32_b32 v0, s23, 0
	s_wait_xcnt 0x0
	s_delay_alu instid0(VALU_DEP_1)
	v_cmpx_eq_u32_e32 0, v0
	s_cbranch_execz .LBB4_627
; %bb.626:                              ;   in Loop: Header=BB4_564 Depth=2
	s_bcnt1_i32_b32 s23, s23
	s_delay_alu instid0(SALU_CYCLE_1)
	v_mov_b32_e32 v0, s23
	global_wb scope:SCOPE_SYS
	s_wait_loadcnt 0x0
	s_wait_storecnt 0x0
	global_atomic_add_u64 v[24:25], v[0:1], off offset:8 scope:SCOPE_SYS
.LBB4_627:                              ;   in Loop: Header=BB4_564 Depth=2
	s_wait_xcnt 0x0
	s_or_b32 exec_lo, exec_lo, s22
	s_wait_loadcnt 0x0
	global_load_b64 v[26:27], v[24:25], off offset:16
	s_wait_loadcnt 0x0
	v_cmp_eq_u64_e32 vcc_lo, 0, v[26:27]
	s_cbranch_vccnz .LBB4_629
; %bb.628:                              ;   in Loop: Header=BB4_564 Depth=2
	global_load_b32 v0, v[24:25], off offset:24
	s_wait_loadcnt 0x0
	v_readfirstlane_b32 s22, v0
	global_wb scope:SCOPE_SYS
	s_wait_storecnt 0x0
	s_wait_xcnt 0x0
	global_store_b64 v[26:27], v[0:1], off scope:SCOPE_SYS
	s_and_b32 m0, s22, 0xffffff
	s_sendmsg sendmsg(MSG_INTERRUPT)
.LBB4_629:                              ;   in Loop: Header=BB4_564 Depth=2
	s_wait_xcnt 0x0
	s_or_b32 exec_lo, exec_lo, s3
	v_mov_b32_e32 v51, v1
	s_delay_alu instid0(VALU_DEP_1)
	v_add_nc_u64_e32 v[20:21], v[20:21], v[50:51]
	s_branch .LBB4_633
.LBB4_630:                              ;   in Loop: Header=BB4_633 Depth=3
	s_wait_xcnt 0x0
	s_or_b32 exec_lo, exec_lo, s3
	s_delay_alu instid0(VALU_DEP_1)
	v_readfirstlane_b32 s3, v0
	s_cmp_eq_u32 s3, 0
	s_cbranch_scc1 .LBB4_632
; %bb.631:                              ;   in Loop: Header=BB4_633 Depth=3
	s_sleep 1
	s_cbranch_execnz .LBB4_633
	s_branch .LBB4_635
.LBB4_632:                              ;   in Loop: Header=BB4_564 Depth=2
	s_branch .LBB4_635
.LBB4_633:                              ;   Parent Loop BB4_3 Depth=1
                                        ;     Parent Loop BB4_564 Depth=2
                                        ; =>    This Inner Loop Header: Depth=3
	v_mov_b32_e32 v0, 1
	s_and_saveexec_b32 s3, s2
	s_cbranch_execz .LBB4_630
; %bb.634:                              ;   in Loop: Header=BB4_633 Depth=3
	global_load_b32 v0, v[16:17], off offset:20 scope:SCOPE_SYS
	s_wait_loadcnt 0x0
	global_inv scope:SCOPE_SYS
	v_and_b32_e32 v0, 1, v0
	s_branch .LBB4_630
.LBB4_635:                              ;   in Loop: Header=BB4_564 Depth=2
	global_load_b64 v[24:25], v[20:21], off
	s_wait_xcnt 0x0
	s_and_saveexec_b32 s22, s2
	s_cbranch_execz .LBB4_563
; %bb.636:                              ;   in Loop: Header=BB4_564 Depth=2
	s_clause 0x2
	global_load_b64 v[16:17], v1, s[12:13] offset:40
	global_load_b64 v[34:35], v1, s[12:13] offset:24 scope:SCOPE_SYS
	global_load_b64 v[20:21], v1, s[12:13]
	s_wait_loadcnt 0x2
	v_readfirstlane_b32 s28, v16
	v_readfirstlane_b32 s29, v17
	s_add_nc_u64 s[2:3], s[28:29], 1
	s_delay_alu instid0(SALU_CYCLE_1) | instskip(NEXT) | instid1(SALU_CYCLE_1)
	s_add_nc_u64 s[20:21], s[2:3], s[20:21]
	s_cmp_eq_u64 s[20:21], 0
	s_cselect_b32 s3, s3, s21
	s_cselect_b32 s2, s2, s20
	s_delay_alu instid0(SALU_CYCLE_1) | instskip(SKIP_1) | instid1(SALU_CYCLE_1)
	v_dual_mov_b32 v33, s3 :: v_dual_mov_b32 v32, s2
	s_and_b64 s[20:21], s[2:3], s[28:29]
	s_mul_u64 s[20:21], s[20:21], 24
	s_wait_loadcnt 0x0
	v_add_nc_u64_e32 v[16:17], s[20:21], v[20:21]
	global_store_b64 v[16:17], v[34:35], off
	global_wb scope:SCOPE_SYS
	s_wait_storecnt 0x0
	s_wait_xcnt 0x0
	global_atomic_cmpswap_b64 v[32:33], v1, v[32:35], s[12:13] offset:24 th:TH_ATOMIC_RETURN scope:SCOPE_SYS
	s_wait_loadcnt 0x0
	v_cmp_ne_u64_e32 vcc_lo, v[32:33], v[34:35]
	s_and_b32 exec_lo, exec_lo, vcc_lo
	s_cbranch_execz .LBB4_563
; %bb.637:                              ;   in Loop: Header=BB4_564 Depth=2
	s_mov_b32 s20, 0
.LBB4_638:                              ;   Parent Loop BB4_3 Depth=1
                                        ;     Parent Loop BB4_564 Depth=2
                                        ; =>    This Inner Loop Header: Depth=3
	v_dual_mov_b32 v30, s2 :: v_dual_mov_b32 v31, s3
	s_sleep 1
	global_store_b64 v[16:17], v[32:33], off
	global_wb scope:SCOPE_SYS
	s_wait_storecnt 0x0
	s_wait_xcnt 0x0
	global_atomic_cmpswap_b64 v[20:21], v1, v[30:33], s[12:13] offset:24 th:TH_ATOMIC_RETURN scope:SCOPE_SYS
	s_wait_loadcnt 0x0
	v_cmp_eq_u64_e32 vcc_lo, v[20:21], v[32:33]
	v_mov_b64_e32 v[32:33], v[20:21]
	s_or_b32 s20, vcc_lo, s20
	s_delay_alu instid0(SALU_CYCLE_1)
	s_and_not1_b32 exec_lo, exec_lo, s20
	s_cbranch_execnz .LBB4_638
	s_branch .LBB4_563
.LBB4_639:                              ;   in Loop: Header=BB4_3 Depth=1
.LBB4_640:                              ;   in Loop: Header=BB4_3 Depth=1
	s_and_b32 vcc_lo, exec_lo, s26
	s_cbranch_vccz .LBB4_747
.LBB4_641:                              ;   in Loop: Header=BB4_3 Depth=1
	s_wait_loadcnt 0x0
	v_dual_mov_b32 v27, v25 :: v_dual_bitop2_b32 v6, 2, v24 bitop3:0x40
	v_and_b32_e32 v26, -3, v24
	s_mov_b64 s[16:17], 45
	s_get_pc_i64 s[14:15]
	s_add_nc_u64 s[14:15], s[14:15], .str.6@rel64+4
	s_branch .LBB4_643
.LBB4_642:                              ;   in Loop: Header=BB4_643 Depth=2
	s_or_b32 exec_lo, exec_lo, s22
	s_sub_nc_u64 s[16:17], s[16:17], s[18:19]
	s_add_nc_u64 s[14:15], s[14:15], s[18:19]
	s_cmp_lg_u64 s[16:17], 0
	s_cbranch_scc0 .LBB4_718
.LBB4_643:                              ;   Parent Loop BB4_3 Depth=1
                                        ; =>  This Loop Header: Depth=2
                                        ;       Child Loop BB4_646 Depth 3
                                        ;       Child Loop BB4_653 Depth 3
	;; [unrolled: 1-line block ×11, first 2 shown]
	v_min_u64 v[16:17], s[16:17], 56
	v_cmp_gt_u64_e64 s2, s[16:17], 7
	s_and_b32 vcc_lo, exec_lo, s2
	v_readfirstlane_b32 s18, v16
	v_readfirstlane_b32 s19, v17
	s_cbranch_vccnz .LBB4_648
; %bb.644:                              ;   in Loop: Header=BB4_643 Depth=2
	v_mov_b64_e32 v[28:29], 0
	s_cmp_eq_u64 s[16:17], 0
	s_cbranch_scc1 .LBB4_647
; %bb.645:                              ;   in Loop: Header=BB4_643 Depth=2
	s_mov_b64 s[2:3], 0
	s_mov_b64 s[20:21], 0
.LBB4_646:                              ;   Parent Loop BB4_3 Depth=1
                                        ;     Parent Loop BB4_643 Depth=2
                                        ; =>    This Inner Loop Header: Depth=3
	s_wait_xcnt 0x0
	s_add_nc_u64 s[22:23], s[14:15], s[20:21]
	s_add_nc_u64 s[20:21], s[20:21], 1
	global_load_u8 v0, v1, s[22:23]
	s_cmp_lg_u32 s18, s20
	s_wait_loadcnt 0x0
	v_and_b32_e32 v0, 0xffff, v0
	s_delay_alu instid0(VALU_DEP_1) | instskip(SKIP_1) | instid1(VALU_DEP_1)
	v_lshlrev_b64_e32 v[16:17], s2, v[0:1]
	s_add_nc_u64 s[2:3], s[2:3], 8
	v_or_b32_e32 v28, v16, v28
	s_delay_alu instid0(VALU_DEP_2)
	v_or_b32_e32 v29, v17, v29
	s_cbranch_scc1 .LBB4_646
.LBB4_647:                              ;   in Loop: Header=BB4_643 Depth=2
	s_mov_b64 s[2:3], s[14:15]
	s_mov_b32 s28, 0
	s_cbranch_execz .LBB4_649
	s_branch .LBB4_650
.LBB4_648:                              ;   in Loop: Header=BB4_643 Depth=2
	s_add_nc_u64 s[2:3], s[14:15], 8
	s_mov_b32 s28, 0
.LBB4_649:                              ;   in Loop: Header=BB4_643 Depth=2
	global_load_b64 v[28:29], v1, s[14:15]
	s_add_co_i32 s28, s18, -8
.LBB4_650:                              ;   in Loop: Header=BB4_643 Depth=2
	s_delay_alu instid0(SALU_CYCLE_1)
	s_cmp_gt_u32 s28, 7
	s_cbranch_scc1 .LBB4_655
; %bb.651:                              ;   in Loop: Header=BB4_643 Depth=2
	v_mov_b64_e32 v[30:31], 0
	s_cmp_eq_u32 s28, 0
	s_cbranch_scc1 .LBB4_654
; %bb.652:                              ;   in Loop: Header=BB4_643 Depth=2
	s_mov_b64 s[20:21], 0
	s_wait_xcnt 0x0
	s_mov_b64 s[22:23], 0
.LBB4_653:                              ;   Parent Loop BB4_3 Depth=1
                                        ;     Parent Loop BB4_643 Depth=2
                                        ; =>    This Inner Loop Header: Depth=3
	s_wait_xcnt 0x0
	s_add_nc_u64 s[30:31], s[2:3], s[22:23]
	s_add_nc_u64 s[22:23], s[22:23], 1
	global_load_u8 v0, v1, s[30:31]
	s_cmp_lg_u32 s28, s22
	s_wait_loadcnt 0x0
	v_and_b32_e32 v0, 0xffff, v0
	s_delay_alu instid0(VALU_DEP_1) | instskip(SKIP_1) | instid1(VALU_DEP_1)
	v_lshlrev_b64_e32 v[16:17], s20, v[0:1]
	s_add_nc_u64 s[20:21], s[20:21], 8
	v_or_b32_e32 v30, v16, v30
	s_delay_alu instid0(VALU_DEP_2)
	v_or_b32_e32 v31, v17, v31
	s_cbranch_scc1 .LBB4_653
.LBB4_654:                              ;   in Loop: Header=BB4_643 Depth=2
	s_wait_xcnt 0x0
	s_mov_b64 s[20:21], s[2:3]
	s_mov_b32 s29, 0
	s_cbranch_execz .LBB4_656
	s_branch .LBB4_657
.LBB4_655:                              ;   in Loop: Header=BB4_643 Depth=2
	s_add_nc_u64 s[20:21], s[2:3], 8
	s_wait_xcnt 0x0
                                        ; implicit-def: $vgpr30_vgpr31
	s_mov_b32 s29, 0
.LBB4_656:                              ;   in Loop: Header=BB4_643 Depth=2
	global_load_b64 v[30:31], v1, s[2:3]
	s_add_co_i32 s29, s28, -8
.LBB4_657:                              ;   in Loop: Header=BB4_643 Depth=2
	s_delay_alu instid0(SALU_CYCLE_1)
	s_cmp_gt_u32 s29, 7
	s_cbranch_scc1 .LBB4_662
; %bb.658:                              ;   in Loop: Header=BB4_643 Depth=2
	v_mov_b64_e32 v[32:33], 0
	s_cmp_eq_u32 s29, 0
	s_cbranch_scc1 .LBB4_661
; %bb.659:                              ;   in Loop: Header=BB4_643 Depth=2
	s_wait_xcnt 0x0
	s_mov_b64 s[2:3], 0
	s_mov_b64 s[22:23], 0
.LBB4_660:                              ;   Parent Loop BB4_3 Depth=1
                                        ;     Parent Loop BB4_643 Depth=2
                                        ; =>    This Inner Loop Header: Depth=3
	s_wait_xcnt 0x0
	s_add_nc_u64 s[30:31], s[20:21], s[22:23]
	s_add_nc_u64 s[22:23], s[22:23], 1
	global_load_u8 v0, v1, s[30:31]
	s_cmp_lg_u32 s29, s22
	s_wait_loadcnt 0x0
	v_and_b32_e32 v0, 0xffff, v0
	s_delay_alu instid0(VALU_DEP_1) | instskip(SKIP_1) | instid1(VALU_DEP_1)
	v_lshlrev_b64_e32 v[16:17], s2, v[0:1]
	s_add_nc_u64 s[2:3], s[2:3], 8
	v_or_b32_e32 v32, v16, v32
	s_delay_alu instid0(VALU_DEP_2)
	v_or_b32_e32 v33, v17, v33
	s_cbranch_scc1 .LBB4_660
.LBB4_661:                              ;   in Loop: Header=BB4_643 Depth=2
	s_wait_xcnt 0x0
	s_mov_b64 s[2:3], s[20:21]
	s_mov_b32 s28, 0
	s_cbranch_execz .LBB4_663
	s_branch .LBB4_664
.LBB4_662:                              ;   in Loop: Header=BB4_643 Depth=2
	s_wait_xcnt 0x0
	s_add_nc_u64 s[2:3], s[20:21], 8
	s_mov_b32 s28, 0
.LBB4_663:                              ;   in Loop: Header=BB4_643 Depth=2
	global_load_b64 v[32:33], v1, s[20:21]
	s_add_co_i32 s28, s29, -8
.LBB4_664:                              ;   in Loop: Header=BB4_643 Depth=2
	s_delay_alu instid0(SALU_CYCLE_1)
	s_cmp_gt_u32 s28, 7
	s_cbranch_scc1 .LBB4_669
; %bb.665:                              ;   in Loop: Header=BB4_643 Depth=2
	v_mov_b64_e32 v[34:35], 0
	s_cmp_eq_u32 s28, 0
	s_cbranch_scc1 .LBB4_668
; %bb.666:                              ;   in Loop: Header=BB4_643 Depth=2
	s_wait_xcnt 0x0
	s_mov_b64 s[20:21], 0
	s_mov_b64 s[22:23], 0
.LBB4_667:                              ;   Parent Loop BB4_3 Depth=1
                                        ;     Parent Loop BB4_643 Depth=2
                                        ; =>    This Inner Loop Header: Depth=3
	s_wait_xcnt 0x0
	s_add_nc_u64 s[30:31], s[2:3], s[22:23]
	s_add_nc_u64 s[22:23], s[22:23], 1
	global_load_u8 v0, v1, s[30:31]
	s_cmp_lg_u32 s28, s22
	s_wait_loadcnt 0x0
	v_and_b32_e32 v0, 0xffff, v0
	s_delay_alu instid0(VALU_DEP_1) | instskip(SKIP_1) | instid1(VALU_DEP_1)
	v_lshlrev_b64_e32 v[16:17], s20, v[0:1]
	s_add_nc_u64 s[20:21], s[20:21], 8
	v_or_b32_e32 v34, v16, v34
	s_delay_alu instid0(VALU_DEP_2)
	v_or_b32_e32 v35, v17, v35
	s_cbranch_scc1 .LBB4_667
.LBB4_668:                              ;   in Loop: Header=BB4_643 Depth=2
	s_wait_xcnt 0x0
	s_mov_b64 s[20:21], s[2:3]
	s_mov_b32 s29, 0
	s_cbranch_execz .LBB4_670
	s_branch .LBB4_671
.LBB4_669:                              ;   in Loop: Header=BB4_643 Depth=2
	s_wait_xcnt 0x0
	s_add_nc_u64 s[20:21], s[2:3], 8
                                        ; implicit-def: $vgpr34_vgpr35
	s_mov_b32 s29, 0
.LBB4_670:                              ;   in Loop: Header=BB4_643 Depth=2
	global_load_b64 v[34:35], v1, s[2:3]
	s_add_co_i32 s29, s28, -8
.LBB4_671:                              ;   in Loop: Header=BB4_643 Depth=2
	s_delay_alu instid0(SALU_CYCLE_1)
	s_cmp_gt_u32 s29, 7
	s_cbranch_scc1 .LBB4_676
; %bb.672:                              ;   in Loop: Header=BB4_643 Depth=2
	v_mov_b64_e32 v[36:37], 0
	s_cmp_eq_u32 s29, 0
	s_cbranch_scc1 .LBB4_675
; %bb.673:                              ;   in Loop: Header=BB4_643 Depth=2
	s_wait_xcnt 0x0
	s_mov_b64 s[2:3], 0
	s_mov_b64 s[22:23], 0
.LBB4_674:                              ;   Parent Loop BB4_3 Depth=1
                                        ;     Parent Loop BB4_643 Depth=2
                                        ; =>    This Inner Loop Header: Depth=3
	s_wait_xcnt 0x0
	s_add_nc_u64 s[30:31], s[20:21], s[22:23]
	s_add_nc_u64 s[22:23], s[22:23], 1
	global_load_u8 v0, v1, s[30:31]
	s_cmp_lg_u32 s29, s22
	s_wait_loadcnt 0x0
	v_and_b32_e32 v0, 0xffff, v0
	s_delay_alu instid0(VALU_DEP_1) | instskip(SKIP_1) | instid1(VALU_DEP_1)
	v_lshlrev_b64_e32 v[16:17], s2, v[0:1]
	s_add_nc_u64 s[2:3], s[2:3], 8
	v_or_b32_e32 v36, v16, v36
	s_delay_alu instid0(VALU_DEP_2)
	v_or_b32_e32 v37, v17, v37
	s_cbranch_scc1 .LBB4_674
.LBB4_675:                              ;   in Loop: Header=BB4_643 Depth=2
	s_wait_xcnt 0x0
	s_mov_b64 s[2:3], s[20:21]
	s_mov_b32 s28, 0
	s_cbranch_execz .LBB4_677
	s_branch .LBB4_678
.LBB4_676:                              ;   in Loop: Header=BB4_643 Depth=2
	s_wait_xcnt 0x0
	s_add_nc_u64 s[2:3], s[20:21], 8
	s_mov_b32 s28, 0
.LBB4_677:                              ;   in Loop: Header=BB4_643 Depth=2
	global_load_b64 v[36:37], v1, s[20:21]
	s_add_co_i32 s28, s29, -8
.LBB4_678:                              ;   in Loop: Header=BB4_643 Depth=2
	s_delay_alu instid0(SALU_CYCLE_1)
	s_cmp_gt_u32 s28, 7
	s_cbranch_scc1 .LBB4_683
; %bb.679:                              ;   in Loop: Header=BB4_643 Depth=2
	v_mov_b64_e32 v[38:39], 0
	s_cmp_eq_u32 s28, 0
	s_cbranch_scc1 .LBB4_682
; %bb.680:                              ;   in Loop: Header=BB4_643 Depth=2
	s_wait_xcnt 0x0
	s_mov_b64 s[20:21], 0
	s_mov_b64 s[22:23], 0
.LBB4_681:                              ;   Parent Loop BB4_3 Depth=1
                                        ;     Parent Loop BB4_643 Depth=2
                                        ; =>    This Inner Loop Header: Depth=3
	s_wait_xcnt 0x0
	s_add_nc_u64 s[30:31], s[2:3], s[22:23]
	s_add_nc_u64 s[22:23], s[22:23], 1
	global_load_u8 v0, v1, s[30:31]
	s_cmp_lg_u32 s28, s22
	s_wait_loadcnt 0x0
	v_and_b32_e32 v0, 0xffff, v0
	s_delay_alu instid0(VALU_DEP_1) | instskip(SKIP_1) | instid1(VALU_DEP_1)
	v_lshlrev_b64_e32 v[16:17], s20, v[0:1]
	s_add_nc_u64 s[20:21], s[20:21], 8
	v_or_b32_e32 v38, v16, v38
	s_delay_alu instid0(VALU_DEP_2)
	v_or_b32_e32 v39, v17, v39
	s_cbranch_scc1 .LBB4_681
.LBB4_682:                              ;   in Loop: Header=BB4_643 Depth=2
	s_wait_xcnt 0x0
	s_mov_b64 s[20:21], s[2:3]
	s_mov_b32 s29, 0
	s_cbranch_execz .LBB4_684
	s_branch .LBB4_685
.LBB4_683:                              ;   in Loop: Header=BB4_643 Depth=2
	s_wait_xcnt 0x0
	s_add_nc_u64 s[20:21], s[2:3], 8
                                        ; implicit-def: $vgpr38_vgpr39
	s_mov_b32 s29, 0
.LBB4_684:                              ;   in Loop: Header=BB4_643 Depth=2
	global_load_b64 v[38:39], v1, s[2:3]
	s_add_co_i32 s29, s28, -8
.LBB4_685:                              ;   in Loop: Header=BB4_643 Depth=2
	s_delay_alu instid0(SALU_CYCLE_1)
	s_cmp_gt_u32 s29, 7
	s_cbranch_scc1 .LBB4_690
; %bb.686:                              ;   in Loop: Header=BB4_643 Depth=2
	v_mov_b64_e32 v[40:41], 0
	s_cmp_eq_u32 s29, 0
	s_cbranch_scc1 .LBB4_689
; %bb.687:                              ;   in Loop: Header=BB4_643 Depth=2
	s_wait_xcnt 0x0
	s_mov_b64 s[2:3], 0
	s_mov_b64 s[22:23], s[20:21]
.LBB4_688:                              ;   Parent Loop BB4_3 Depth=1
                                        ;     Parent Loop BB4_643 Depth=2
                                        ; =>    This Inner Loop Header: Depth=3
	global_load_u8 v0, v1, s[22:23]
	s_add_co_i32 s29, s29, -1
	s_wait_xcnt 0x0
	s_add_nc_u64 s[22:23], s[22:23], 1
	s_cmp_lg_u32 s29, 0
	s_wait_loadcnt 0x0
	v_and_b32_e32 v0, 0xffff, v0
	s_delay_alu instid0(VALU_DEP_1) | instskip(SKIP_1) | instid1(VALU_DEP_1)
	v_lshlrev_b64_e32 v[16:17], s2, v[0:1]
	s_add_nc_u64 s[2:3], s[2:3], 8
	v_or_b32_e32 v40, v16, v40
	s_delay_alu instid0(VALU_DEP_2)
	v_or_b32_e32 v41, v17, v41
	s_cbranch_scc1 .LBB4_688
.LBB4_689:                              ;   in Loop: Header=BB4_643 Depth=2
	s_wait_xcnt 0x0
	s_cbranch_execz .LBB4_691
	s_branch .LBB4_692
.LBB4_690:                              ;   in Loop: Header=BB4_643 Depth=2
	s_wait_xcnt 0x0
.LBB4_691:                              ;   in Loop: Header=BB4_643 Depth=2
	global_load_b64 v[40:41], v1, s[20:21]
.LBB4_692:                              ;   in Loop: Header=BB4_643 Depth=2
	v_readfirstlane_b32 s2, v46
	v_mov_b64_e32 v[16:17], 0
	s_delay_alu instid0(VALU_DEP_2)
	v_cmp_eq_u32_e64 s2, s2, v46
	s_wait_xcnt 0x0
	s_and_saveexec_b32 s3, s2
	s_cbranch_execz .LBB4_698
; %bb.693:                              ;   in Loop: Header=BB4_643 Depth=2
	global_load_b64 v[44:45], v1, s[12:13] offset:24 scope:SCOPE_SYS
	s_wait_loadcnt 0x0
	global_inv scope:SCOPE_SYS
	s_clause 0x1
	global_load_b64 v[16:17], v1, s[12:13] offset:40
	global_load_b64 v[20:21], v1, s[12:13]
	s_mov_b32 s20, exec_lo
	s_wait_loadcnt 0x1
	v_and_b32_e32 v16, v16, v44
	v_and_b32_e32 v17, v17, v45
	s_delay_alu instid0(VALU_DEP_1) | instskip(SKIP_1) | instid1(VALU_DEP_1)
	v_mul_u64_e32 v[16:17], 24, v[16:17]
	s_wait_loadcnt 0x0
	v_add_nc_u64_e32 v[16:17], v[20:21], v[16:17]
	global_load_b64 v[42:43], v[16:17], off scope:SCOPE_SYS
	s_wait_xcnt 0x0
	s_wait_loadcnt 0x0
	global_atomic_cmpswap_b64 v[16:17], v1, v[42:45], s[12:13] offset:24 th:TH_ATOMIC_RETURN scope:SCOPE_SYS
	s_wait_loadcnt 0x0
	global_inv scope:SCOPE_SYS
	s_wait_xcnt 0x0
	v_cmpx_ne_u64_e64 v[16:17], v[44:45]
	s_cbranch_execz .LBB4_697
; %bb.694:                              ;   in Loop: Header=BB4_643 Depth=2
	s_mov_b32 s21, 0
.LBB4_695:                              ;   Parent Loop BB4_3 Depth=1
                                        ;     Parent Loop BB4_643 Depth=2
                                        ; =>    This Inner Loop Header: Depth=3
	s_sleep 1
	s_clause 0x1
	global_load_b64 v[20:21], v1, s[12:13] offset:40
	global_load_b64 v[42:43], v1, s[12:13]
	v_mov_b64_e32 v[44:45], v[16:17]
	s_wait_loadcnt 0x1
	s_delay_alu instid0(VALU_DEP_1) | instskip(SKIP_1) | instid1(VALU_DEP_1)
	v_and_b32_e32 v0, v20, v44
	s_wait_loadcnt 0x0
	v_mad_nc_u64_u32 v[16:17], v0, 24, v[42:43]
	s_delay_alu instid0(VALU_DEP_3) | instskip(NEXT) | instid1(VALU_DEP_1)
	v_and_b32_e32 v0, v21, v45
	v_mad_u32 v17, v0, 24, v17
	global_load_b64 v[42:43], v[16:17], off scope:SCOPE_SYS
	s_wait_xcnt 0x0
	s_wait_loadcnt 0x0
	global_atomic_cmpswap_b64 v[16:17], v1, v[42:45], s[12:13] offset:24 th:TH_ATOMIC_RETURN scope:SCOPE_SYS
	s_wait_loadcnt 0x0
	global_inv scope:SCOPE_SYS
	v_cmp_eq_u64_e32 vcc_lo, v[16:17], v[44:45]
	s_or_b32 s21, vcc_lo, s21
	s_wait_xcnt 0x0
	s_and_not1_b32 exec_lo, exec_lo, s21
	s_cbranch_execnz .LBB4_695
; %bb.696:                              ;   in Loop: Header=BB4_643 Depth=2
	s_or_b32 exec_lo, exec_lo, s21
.LBB4_697:                              ;   in Loop: Header=BB4_643 Depth=2
	s_delay_alu instid0(SALU_CYCLE_1)
	s_or_b32 exec_lo, exec_lo, s20
.LBB4_698:                              ;   in Loop: Header=BB4_643 Depth=2
	s_delay_alu instid0(SALU_CYCLE_1)
	s_or_b32 exec_lo, exec_lo, s3
	s_clause 0x1
	global_load_b64 v[20:21], v1, s[12:13] offset:40
	global_load_b128 v[42:45], v1, s[12:13]
	v_readfirstlane_b32 s20, v16
	v_readfirstlane_b32 s21, v17
	s_mov_b32 s3, exec_lo
	s_wait_loadcnt 0x1
	v_and_b32_e32 v20, s20, v20
	v_and_b32_e32 v21, s21, v21
	s_delay_alu instid0(VALU_DEP_1) | instskip(SKIP_1) | instid1(VALU_DEP_1)
	v_mul_u64_e32 v[16:17], 24, v[20:21]
	s_wait_loadcnt 0x0
	v_add_nc_u64_e32 v[16:17], v[42:43], v[16:17]
	s_wait_xcnt 0x0
	s_and_saveexec_b32 s22, s2
	s_cbranch_execz .LBB4_700
; %bb.699:                              ;   in Loop: Header=BB4_643 Depth=2
	v_mov_b32_e32 v0, s3
	global_store_b128 v[16:17], v[0:3], off offset:8
.LBB4_700:                              ;   in Loop: Header=BB4_643 Depth=2
	s_wait_xcnt 0x0
	s_or_b32 exec_lo, exec_lo, s22
	v_cmp_lt_u64_e64 vcc_lo, s[16:17], 57
	v_lshlrev_b64_e32 v[20:21], 12, v[20:21]
	v_and_b32_e32 v5, 0xffffff1f, v26
	s_lshl_b32 s3, s18, 2
	s_delay_alu instid0(SALU_CYCLE_1) | instskip(SKIP_1) | instid1(VALU_DEP_3)
	s_add_co_i32 s3, s3, 28
	v_cndmask_b32_e32 v0, 0, v6, vcc_lo
	v_add_nc_u64_e32 v[20:21], v[44:45], v[20:21]
	s_delay_alu instid0(VALU_DEP_2) | instskip(NEXT) | instid1(VALU_DEP_2)
	v_or_b32_e32 v0, v5, v0
	v_readfirstlane_b32 s22, v20
	s_delay_alu instid0(VALU_DEP_3) | instskip(NEXT) | instid1(VALU_DEP_3)
	v_readfirstlane_b32 s23, v21
	v_and_or_b32 v26, 0x1e0, s3, v0
	s_clause 0x3
	global_store_b128 v50, v[26:29], s[22:23]
	global_store_b128 v50, v[30:33], s[22:23] offset:16
	global_store_b128 v50, v[34:37], s[22:23] offset:32
	;; [unrolled: 1-line block ×3, first 2 shown]
	s_wait_xcnt 0x0
	s_and_saveexec_b32 s3, s2
	s_cbranch_execz .LBB4_708
; %bb.701:                              ;   in Loop: Header=BB4_643 Depth=2
	s_clause 0x1
	global_load_b64 v[34:35], v1, s[12:13] offset:32 scope:SCOPE_SYS
	global_load_b64 v[26:27], v1, s[12:13] offset:40
	s_mov_b32 s22, exec_lo
	v_dual_mov_b32 v32, s20 :: v_dual_mov_b32 v33, s21
	s_wait_loadcnt 0x0
	v_and_b32_e32 v27, s21, v27
	v_and_b32_e32 v26, s20, v26
	s_delay_alu instid0(VALU_DEP_1) | instskip(NEXT) | instid1(VALU_DEP_1)
	v_mul_u64_e32 v[26:27], 24, v[26:27]
	v_add_nc_u64_e32 v[30:31], v[42:43], v[26:27]
	global_store_b64 v[30:31], v[34:35], off
	global_wb scope:SCOPE_SYS
	s_wait_storecnt 0x0
	s_wait_xcnt 0x0
	global_atomic_cmpswap_b64 v[28:29], v1, v[32:35], s[12:13] offset:32 th:TH_ATOMIC_RETURN scope:SCOPE_SYS
	s_wait_loadcnt 0x0
	v_cmpx_ne_u64_e64 v[28:29], v[34:35]
	s_cbranch_execz .LBB4_704
; %bb.702:                              ;   in Loop: Header=BB4_643 Depth=2
	s_mov_b32 s23, 0
.LBB4_703:                              ;   Parent Loop BB4_3 Depth=1
                                        ;     Parent Loop BB4_643 Depth=2
                                        ; =>    This Inner Loop Header: Depth=3
	v_dual_mov_b32 v26, s20 :: v_dual_mov_b32 v27, s21
	s_sleep 1
	global_store_b64 v[30:31], v[28:29], off
	global_wb scope:SCOPE_SYS
	s_wait_storecnt 0x0
	s_wait_xcnt 0x0
	global_atomic_cmpswap_b64 v[26:27], v1, v[26:29], s[12:13] offset:32 th:TH_ATOMIC_RETURN scope:SCOPE_SYS
	s_wait_loadcnt 0x0
	v_cmp_eq_u64_e32 vcc_lo, v[26:27], v[28:29]
	v_mov_b64_e32 v[28:29], v[26:27]
	s_or_b32 s23, vcc_lo, s23
	s_delay_alu instid0(SALU_CYCLE_1)
	s_and_not1_b32 exec_lo, exec_lo, s23
	s_cbranch_execnz .LBB4_703
.LBB4_704:                              ;   in Loop: Header=BB4_643 Depth=2
	s_or_b32 exec_lo, exec_lo, s22
	global_load_b64 v[26:27], v1, s[12:13] offset:16
	s_mov_b32 s23, exec_lo
	s_mov_b32 s22, exec_lo
	v_mbcnt_lo_u32_b32 v0, s23, 0
	s_wait_xcnt 0x0
	s_delay_alu instid0(VALU_DEP_1)
	v_cmpx_eq_u32_e32 0, v0
	s_cbranch_execz .LBB4_706
; %bb.705:                              ;   in Loop: Header=BB4_643 Depth=2
	s_bcnt1_i32_b32 s23, s23
	s_delay_alu instid0(SALU_CYCLE_1)
	v_mov_b32_e32 v0, s23
	global_wb scope:SCOPE_SYS
	s_wait_loadcnt 0x0
	s_wait_storecnt 0x0
	global_atomic_add_u64 v[26:27], v[0:1], off offset:8 scope:SCOPE_SYS
.LBB4_706:                              ;   in Loop: Header=BB4_643 Depth=2
	s_wait_xcnt 0x0
	s_or_b32 exec_lo, exec_lo, s22
	s_wait_loadcnt 0x0
	global_load_b64 v[28:29], v[26:27], off offset:16
	s_wait_loadcnt 0x0
	v_cmp_eq_u64_e32 vcc_lo, 0, v[28:29]
	s_cbranch_vccnz .LBB4_708
; %bb.707:                              ;   in Loop: Header=BB4_643 Depth=2
	global_load_b32 v0, v[26:27], off offset:24
	s_wait_loadcnt 0x0
	v_readfirstlane_b32 s22, v0
	global_wb scope:SCOPE_SYS
	s_wait_storecnt 0x0
	s_wait_xcnt 0x0
	global_store_b64 v[28:29], v[0:1], off scope:SCOPE_SYS
	s_and_b32 m0, s22, 0xffffff
	s_sendmsg sendmsg(MSG_INTERRUPT)
.LBB4_708:                              ;   in Loop: Header=BB4_643 Depth=2
	s_wait_xcnt 0x0
	s_or_b32 exec_lo, exec_lo, s3
	v_mov_b32_e32 v51, v1
	s_delay_alu instid0(VALU_DEP_1)
	v_add_nc_u64_e32 v[20:21], v[20:21], v[50:51]
	s_branch .LBB4_712
.LBB4_709:                              ;   in Loop: Header=BB4_712 Depth=3
	s_wait_xcnt 0x0
	s_or_b32 exec_lo, exec_lo, s3
	s_delay_alu instid0(VALU_DEP_1)
	v_readfirstlane_b32 s3, v0
	s_cmp_eq_u32 s3, 0
	s_cbranch_scc1 .LBB4_711
; %bb.710:                              ;   in Loop: Header=BB4_712 Depth=3
	s_sleep 1
	s_cbranch_execnz .LBB4_712
	s_branch .LBB4_714
.LBB4_711:                              ;   in Loop: Header=BB4_643 Depth=2
	s_branch .LBB4_714
.LBB4_712:                              ;   Parent Loop BB4_3 Depth=1
                                        ;     Parent Loop BB4_643 Depth=2
                                        ; =>    This Inner Loop Header: Depth=3
	v_mov_b32_e32 v0, 1
	s_and_saveexec_b32 s3, s2
	s_cbranch_execz .LBB4_709
; %bb.713:                              ;   in Loop: Header=BB4_712 Depth=3
	global_load_b32 v0, v[16:17], off offset:20 scope:SCOPE_SYS
	s_wait_loadcnt 0x0
	global_inv scope:SCOPE_SYS
	v_and_b32_e32 v0, 1, v0
	s_branch .LBB4_709
.LBB4_714:                              ;   in Loop: Header=BB4_643 Depth=2
	global_load_b64 v[26:27], v[20:21], off
	s_wait_xcnt 0x0
	s_and_saveexec_b32 s22, s2
	s_cbranch_execz .LBB4_642
; %bb.715:                              ;   in Loop: Header=BB4_643 Depth=2
	s_clause 0x2
	global_load_b64 v[16:17], v1, s[12:13] offset:40
	global_load_b64 v[32:33], v1, s[12:13] offset:24 scope:SCOPE_SYS
	global_load_b64 v[20:21], v1, s[12:13]
	s_wait_loadcnt 0x2
	v_readfirstlane_b32 s28, v16
	v_readfirstlane_b32 s29, v17
	s_add_nc_u64 s[2:3], s[28:29], 1
	s_delay_alu instid0(SALU_CYCLE_1) | instskip(NEXT) | instid1(SALU_CYCLE_1)
	s_add_nc_u64 s[20:21], s[2:3], s[20:21]
	s_cmp_eq_u64 s[20:21], 0
	s_cselect_b32 s3, s3, s21
	s_cselect_b32 s2, s2, s20
	s_delay_alu instid0(SALU_CYCLE_1) | instskip(SKIP_1) | instid1(SALU_CYCLE_1)
	v_dual_mov_b32 v31, s3 :: v_dual_mov_b32 v30, s2
	s_and_b64 s[20:21], s[2:3], s[28:29]
	s_mul_u64 s[20:21], s[20:21], 24
	s_wait_loadcnt 0x0
	v_add_nc_u64_e32 v[16:17], s[20:21], v[20:21]
	global_store_b64 v[16:17], v[32:33], off
	global_wb scope:SCOPE_SYS
	s_wait_storecnt 0x0
	s_wait_xcnt 0x0
	global_atomic_cmpswap_b64 v[30:31], v1, v[30:33], s[12:13] offset:24 th:TH_ATOMIC_RETURN scope:SCOPE_SYS
	s_wait_loadcnt 0x0
	v_cmp_ne_u64_e32 vcc_lo, v[30:31], v[32:33]
	s_and_b32 exec_lo, exec_lo, vcc_lo
	s_cbranch_execz .LBB4_642
; %bb.716:                              ;   in Loop: Header=BB4_643 Depth=2
	s_mov_b32 s20, 0
.LBB4_717:                              ;   Parent Loop BB4_3 Depth=1
                                        ;     Parent Loop BB4_643 Depth=2
                                        ; =>    This Inner Loop Header: Depth=3
	v_dual_mov_b32 v28, s2 :: v_dual_mov_b32 v29, s3
	s_sleep 1
	global_store_b64 v[16:17], v[30:31], off
	global_wb scope:SCOPE_SYS
	s_wait_storecnt 0x0
	s_wait_xcnt 0x0
	global_atomic_cmpswap_b64 v[20:21], v1, v[28:31], s[12:13] offset:24 th:TH_ATOMIC_RETURN scope:SCOPE_SYS
	s_wait_loadcnt 0x0
	v_cmp_eq_u64_e32 vcc_lo, v[20:21], v[30:31]
	v_mov_b64_e32 v[30:31], v[20:21]
	s_or_b32 s20, vcc_lo, s20
	s_delay_alu instid0(SALU_CYCLE_1)
	s_and_not1_b32 exec_lo, exec_lo, s20
	s_cbranch_execnz .LBB4_717
	s_branch .LBB4_642
.LBB4_718:                              ;   in Loop: Header=BB4_3 Depth=1
	s_branch .LBB4_775
.LBB4_719:                              ;   in Loop: Header=BB4_3 Depth=1
                                        ; implicit-def: $vgpr24_vgpr25
	s_cbranch_execz .LBB4_640
; %bb.720:                              ;   in Loop: Header=BB4_3 Depth=1
	v_readfirstlane_b32 s2, v46
	v_mov_b64_e32 v[6:7], 0
	s_delay_alu instid0(VALU_DEP_2)
	v_cmp_eq_u32_e64 s2, s2, v46
	s_and_saveexec_b32 s3, s2
	s_cbranch_execz .LBB4_726
; %bb.721:                              ;   in Loop: Header=BB4_3 Depth=1
	global_load_b64 v[26:27], v1, s[12:13] offset:24 scope:SCOPE_SYS
	s_wait_loadcnt 0x0
	global_inv scope:SCOPE_SYS
	s_clause 0x1
	global_load_b64 v[6:7], v1, s[12:13] offset:40
	global_load_b64 v[16:17], v1, s[12:13]
	s_mov_b32 s14, exec_lo
	s_wait_loadcnt 0x1
	v_and_b32_e32 v6, v6, v26
	v_and_b32_e32 v7, v7, v27
	s_delay_alu instid0(VALU_DEP_1) | instskip(SKIP_1) | instid1(VALU_DEP_1)
	v_mul_u64_e32 v[6:7], 24, v[6:7]
	s_wait_loadcnt 0x0
	v_add_nc_u64_e32 v[6:7], v[16:17], v[6:7]
	global_load_b64 v[24:25], v[6:7], off scope:SCOPE_SYS
	s_wait_xcnt 0x0
	s_wait_loadcnt 0x0
	global_atomic_cmpswap_b64 v[6:7], v1, v[24:27], s[12:13] offset:24 th:TH_ATOMIC_RETURN scope:SCOPE_SYS
	s_wait_loadcnt 0x0
	global_inv scope:SCOPE_SYS
	s_wait_xcnt 0x0
	v_cmpx_ne_u64_e64 v[6:7], v[26:27]
	s_cbranch_execz .LBB4_725
; %bb.722:                              ;   in Loop: Header=BB4_3 Depth=1
	s_mov_b32 s15, 0
.LBB4_723:                              ;   Parent Loop BB4_3 Depth=1
                                        ; =>  This Inner Loop Header: Depth=2
	s_sleep 1
	s_clause 0x1
	global_load_b64 v[16:17], v1, s[12:13] offset:40
	global_load_b64 v[20:21], v1, s[12:13]
	v_mov_b64_e32 v[26:27], v[6:7]
	s_wait_loadcnt 0x1
	s_delay_alu instid0(VALU_DEP_1) | instskip(SKIP_1) | instid1(VALU_DEP_1)
	v_and_b32_e32 v0, v16, v26
	s_wait_loadcnt 0x0
	v_mad_nc_u64_u32 v[6:7], v0, 24, v[20:21]
	s_delay_alu instid0(VALU_DEP_3) | instskip(NEXT) | instid1(VALU_DEP_1)
	v_and_b32_e32 v0, v17, v27
	v_mad_u32 v7, v0, 24, v7
	global_load_b64 v[24:25], v[6:7], off scope:SCOPE_SYS
	s_wait_xcnt 0x0
	s_wait_loadcnt 0x0
	global_atomic_cmpswap_b64 v[6:7], v1, v[24:27], s[12:13] offset:24 th:TH_ATOMIC_RETURN scope:SCOPE_SYS
	s_wait_loadcnt 0x0
	global_inv scope:SCOPE_SYS
	v_cmp_eq_u64_e32 vcc_lo, v[6:7], v[26:27]
	s_or_b32 s15, vcc_lo, s15
	s_wait_xcnt 0x0
	s_and_not1_b32 exec_lo, exec_lo, s15
	s_cbranch_execnz .LBB4_723
; %bb.724:                              ;   in Loop: Header=BB4_3 Depth=1
	s_or_b32 exec_lo, exec_lo, s15
.LBB4_725:                              ;   in Loop: Header=BB4_3 Depth=1
	s_delay_alu instid0(SALU_CYCLE_1)
	s_or_b32 exec_lo, exec_lo, s14
.LBB4_726:                              ;   in Loop: Header=BB4_3 Depth=1
	s_delay_alu instid0(SALU_CYCLE_1)
	s_or_b32 exec_lo, exec_lo, s3
	global_load_b64 v[16:17], v1, s[12:13] offset:40
	s_wait_loadcnt 0x1
	global_load_b128 v[24:27], v1, s[12:13]
	v_readfirstlane_b32 s14, v6
	v_readfirstlane_b32 s15, v7
	s_mov_b32 s3, exec_lo
	s_wait_loadcnt 0x1
	v_and_b32_e32 v16, s14, v16
	v_and_b32_e32 v17, s15, v17
	s_delay_alu instid0(VALU_DEP_1) | instskip(SKIP_1) | instid1(VALU_DEP_1)
	v_mul_u64_e32 v[6:7], 24, v[16:17]
	s_wait_loadcnt 0x0
	v_add_nc_u64_e32 v[6:7], v[24:25], v[6:7]
	s_wait_xcnt 0x0
	s_and_saveexec_b32 s16, s2
	s_cbranch_execz .LBB4_728
; %bb.727:                              ;   in Loop: Header=BB4_3 Depth=1
	v_mov_b32_e32 v0, s3
	global_store_b128 v[6:7], v[0:3], off offset:8
.LBB4_728:                              ;   in Loop: Header=BB4_3 Depth=1
	s_wait_xcnt 0x0
	s_or_b32 exec_lo, exec_lo, s16
	v_lshlrev_b64_e32 v[16:17], 12, v[16:17]
	v_mov_b64_e32 v[34:35], s[6:7]
	v_mov_b64_e32 v[32:33], s[4:5]
	v_and_or_b32 v28, 0xffffff1f, v28, 32
	v_dual_mov_b32 v30, v1 :: v_dual_mov_b32 v31, v1
	v_add_nc_u64_e32 v[16:17], v[26:27], v[16:17]
	s_delay_alu instid0(VALU_DEP_1) | instskip(NEXT) | instid1(VALU_DEP_2)
	v_readfirstlane_b32 s16, v16
	v_readfirstlane_b32 s17, v17
	s_clause 0x3
	global_store_b128 v50, v[28:31], s[16:17]
	global_store_b128 v50, v[32:35], s[16:17] offset:16
	global_store_b128 v50, v[32:35], s[16:17] offset:32
	;; [unrolled: 1-line block ×3, first 2 shown]
	s_wait_xcnt 0x0
	s_and_saveexec_b32 s3, s2
	s_cbranch_execz .LBB4_736
; %bb.729:                              ;   in Loop: Header=BB4_3 Depth=1
	s_clause 0x1
	global_load_b64 v[28:29], v1, s[12:13] offset:32 scope:SCOPE_SYS
	global_load_b64 v[20:21], v1, s[12:13] offset:40
	s_mov_b32 s16, exec_lo
	v_dual_mov_b32 v26, s14 :: v_dual_mov_b32 v27, s15
	s_wait_loadcnt 0x0
	v_and_b32_e32 v21, s15, v21
	v_and_b32_e32 v20, s14, v20
	s_delay_alu instid0(VALU_DEP_1) | instskip(NEXT) | instid1(VALU_DEP_1)
	v_mul_u64_e32 v[20:21], 24, v[20:21]
	v_add_nc_u64_e32 v[20:21], v[24:25], v[20:21]
	global_store_b64 v[20:21], v[28:29], off
	global_wb scope:SCOPE_SYS
	s_wait_storecnt 0x0
	s_wait_xcnt 0x0
	global_atomic_cmpswap_b64 v[26:27], v1, v[26:29], s[12:13] offset:32 th:TH_ATOMIC_RETURN scope:SCOPE_SYS
	s_wait_loadcnt 0x0
	s_wait_xcnt 0x0
	v_cmpx_ne_u64_e64 v[26:27], v[28:29]
	s_cbranch_execz .LBB4_732
; %bb.730:                              ;   in Loop: Header=BB4_3 Depth=1
	s_mov_b32 s17, 0
.LBB4_731:                              ;   Parent Loop BB4_3 Depth=1
                                        ; =>  This Inner Loop Header: Depth=2
	v_dual_mov_b32 v24, s14 :: v_dual_mov_b32 v25, s15
	s_sleep 1
	global_store_b64 v[20:21], v[26:27], off
	global_wb scope:SCOPE_SYS
	s_wait_storecnt 0x0
	s_wait_xcnt 0x0
	global_atomic_cmpswap_b64 v[24:25], v1, v[24:27], s[12:13] offset:32 th:TH_ATOMIC_RETURN scope:SCOPE_SYS
	s_wait_loadcnt 0x0
	v_cmp_eq_u64_e32 vcc_lo, v[24:25], v[26:27]
	s_wait_xcnt 0x0
	v_mov_b64_e32 v[26:27], v[24:25]
	s_or_b32 s17, vcc_lo, s17
	s_delay_alu instid0(SALU_CYCLE_1)
	s_and_not1_b32 exec_lo, exec_lo, s17
	s_cbranch_execnz .LBB4_731
.LBB4_732:                              ;   in Loop: Header=BB4_3 Depth=1
	s_or_b32 exec_lo, exec_lo, s16
	global_load_b64 v[20:21], v1, s[12:13] offset:16
	s_mov_b32 s17, exec_lo
	s_mov_b32 s16, exec_lo
	v_mbcnt_lo_u32_b32 v0, s17, 0
	s_wait_xcnt 0x0
	s_delay_alu instid0(VALU_DEP_1)
	v_cmpx_eq_u32_e32 0, v0
	s_cbranch_execz .LBB4_734
; %bb.733:                              ;   in Loop: Header=BB4_3 Depth=1
	s_bcnt1_i32_b32 s17, s17
	s_delay_alu instid0(SALU_CYCLE_1)
	v_mov_b32_e32 v0, s17
	global_wb scope:SCOPE_SYS
	s_wait_loadcnt 0x0
	s_wait_storecnt 0x0
	global_atomic_add_u64 v[20:21], v[0:1], off offset:8 scope:SCOPE_SYS
.LBB4_734:                              ;   in Loop: Header=BB4_3 Depth=1
	s_wait_xcnt 0x0
	s_or_b32 exec_lo, exec_lo, s16
	s_wait_loadcnt 0x0
	global_load_b64 v[24:25], v[20:21], off offset:16
	s_wait_loadcnt 0x0
	v_cmp_eq_u64_e32 vcc_lo, 0, v[24:25]
	s_cbranch_vccnz .LBB4_736
; %bb.735:                              ;   in Loop: Header=BB4_3 Depth=1
	global_load_b32 v0, v[20:21], off offset:24
	s_wait_loadcnt 0x0
	v_readfirstlane_b32 s16, v0
	global_wb scope:SCOPE_SYS
	s_wait_storecnt 0x0
	s_wait_xcnt 0x0
	global_store_b64 v[24:25], v[0:1], off scope:SCOPE_SYS
	s_and_b32 m0, s16, 0xffffff
	s_sendmsg sendmsg(MSG_INTERRUPT)
.LBB4_736:                              ;   in Loop: Header=BB4_3 Depth=1
	s_wait_xcnt 0x0
	s_or_b32 exec_lo, exec_lo, s3
	v_mov_b32_e32 v51, v1
	s_delay_alu instid0(VALU_DEP_1)
	v_add_nc_u64_e32 v[16:17], v[16:17], v[50:51]
	s_branch .LBB4_740
.LBB4_737:                              ;   in Loop: Header=BB4_740 Depth=2
	s_wait_xcnt 0x0
	s_or_b32 exec_lo, exec_lo, s3
	s_delay_alu instid0(VALU_DEP_1)
	v_readfirstlane_b32 s3, v0
	s_cmp_eq_u32 s3, 0
	s_cbranch_scc1 .LBB4_739
; %bb.738:                              ;   in Loop: Header=BB4_740 Depth=2
	s_sleep 1
	s_cbranch_execnz .LBB4_740
	s_branch .LBB4_742
.LBB4_739:                              ;   in Loop: Header=BB4_3 Depth=1
	s_branch .LBB4_742
.LBB4_740:                              ;   Parent Loop BB4_3 Depth=1
                                        ; =>  This Inner Loop Header: Depth=2
	v_mov_b32_e32 v0, 1
	s_and_saveexec_b32 s3, s2
	s_cbranch_execz .LBB4_737
; %bb.741:                              ;   in Loop: Header=BB4_740 Depth=2
	global_load_b32 v0, v[6:7], off offset:20 scope:SCOPE_SYS
	s_wait_loadcnt 0x0
	global_inv scope:SCOPE_SYS
	v_and_b32_e32 v0, 1, v0
	s_branch .LBB4_737
.LBB4_742:                              ;   in Loop: Header=BB4_3 Depth=1
	global_load_b64 v[24:25], v[16:17], off
	s_wait_xcnt 0x0
	s_and_saveexec_b32 s16, s2
	s_cbranch_execz .LBB4_746
; %bb.743:                              ;   in Loop: Header=BB4_3 Depth=1
	s_clause 0x2
	global_load_b64 v[6:7], v1, s[12:13] offset:40
	global_load_b64 v[30:31], v1, s[12:13] offset:24 scope:SCOPE_SYS
	global_load_b64 v[16:17], v1, s[12:13]
	s_wait_loadcnt 0x2
	v_readfirstlane_b32 s18, v6
	v_readfirstlane_b32 s19, v7
	s_add_nc_u64 s[2:3], s[18:19], 1
	s_delay_alu instid0(SALU_CYCLE_1) | instskip(NEXT) | instid1(SALU_CYCLE_1)
	s_add_nc_u64 s[14:15], s[2:3], s[14:15]
	s_cmp_eq_u64 s[14:15], 0
	s_cselect_b32 s3, s3, s15
	s_cselect_b32 s2, s2, s14
	s_delay_alu instid0(SALU_CYCLE_1) | instskip(SKIP_1) | instid1(SALU_CYCLE_1)
	v_dual_mov_b32 v29, s3 :: v_dual_mov_b32 v28, s2
	s_and_b64 s[14:15], s[2:3], s[18:19]
	s_mul_u64 s[14:15], s[14:15], 24
	s_wait_loadcnt 0x0
	v_add_nc_u64_e32 v[6:7], s[14:15], v[16:17]
	global_store_b64 v[6:7], v[30:31], off
	global_wb scope:SCOPE_SYS
	s_wait_storecnt 0x0
	s_wait_xcnt 0x0
	global_atomic_cmpswap_b64 v[28:29], v1, v[28:31], s[12:13] offset:24 th:TH_ATOMIC_RETURN scope:SCOPE_SYS
	s_wait_loadcnt 0x0
	v_cmp_ne_u64_e32 vcc_lo, v[28:29], v[30:31]
	s_wait_xcnt 0x0
	s_and_b32 exec_lo, exec_lo, vcc_lo
	s_cbranch_execz .LBB4_746
; %bb.744:                              ;   in Loop: Header=BB4_3 Depth=1
	s_mov_b32 s14, 0
.LBB4_745:                              ;   Parent Loop BB4_3 Depth=1
                                        ; =>  This Inner Loop Header: Depth=2
	v_dual_mov_b32 v26, s2 :: v_dual_mov_b32 v27, s3
	s_sleep 1
	global_store_b64 v[6:7], v[28:29], off
	global_wb scope:SCOPE_SYS
	s_wait_storecnt 0x0
	s_wait_xcnt 0x0
	global_atomic_cmpswap_b64 v[16:17], v1, v[26:29], s[12:13] offset:24 th:TH_ATOMIC_RETURN scope:SCOPE_SYS
	s_wait_loadcnt 0x0
	v_cmp_eq_u64_e32 vcc_lo, v[16:17], v[28:29]
	s_wait_xcnt 0x0
	v_mov_b64_e32 v[28:29], v[16:17]
	s_or_b32 s14, vcc_lo, s14
	s_delay_alu instid0(SALU_CYCLE_1)
	s_and_not1_b32 exec_lo, exec_lo, s14
	s_cbranch_execnz .LBB4_745
.LBB4_746:                              ;   in Loop: Header=BB4_3 Depth=1
	s_or_b32 exec_lo, exec_lo, s16
	s_delay_alu instid0(SALU_CYCLE_1)
	s_and_b32 vcc_lo, exec_lo, s26
	s_cbranch_vccnz .LBB4_641
.LBB4_747:                              ;   in Loop: Header=BB4_3 Depth=1
                                        ; implicit-def: $vgpr26_vgpr27
	s_cbranch_execz .LBB4_775
; %bb.748:                              ;   in Loop: Header=BB4_3 Depth=1
	v_readfirstlane_b32 s2, v46
	v_mov_b64_e32 v[6:7], 0
	s_delay_alu instid0(VALU_DEP_2)
	v_cmp_eq_u32_e64 s2, s2, v46
	s_and_saveexec_b32 s3, s2
	s_cbranch_execz .LBB4_754
; %bb.749:                              ;   in Loop: Header=BB4_3 Depth=1
	s_wait_loadcnt 0x0
	global_load_b64 v[28:29], v1, s[12:13] offset:24 scope:SCOPE_SYS
	s_wait_loadcnt 0x0
	global_inv scope:SCOPE_SYS
	s_clause 0x1
	global_load_b64 v[6:7], v1, s[12:13] offset:40
	global_load_b64 v[16:17], v1, s[12:13]
	s_mov_b32 s14, exec_lo
	s_wait_loadcnt 0x1
	v_and_b32_e32 v6, v6, v28
	v_and_b32_e32 v7, v7, v29
	s_delay_alu instid0(VALU_DEP_1) | instskip(SKIP_1) | instid1(VALU_DEP_1)
	v_mul_u64_e32 v[6:7], 24, v[6:7]
	s_wait_loadcnt 0x0
	v_add_nc_u64_e32 v[6:7], v[16:17], v[6:7]
	global_load_b64 v[26:27], v[6:7], off scope:SCOPE_SYS
	s_wait_xcnt 0x0
	s_wait_loadcnt 0x0
	global_atomic_cmpswap_b64 v[6:7], v1, v[26:29], s[12:13] offset:24 th:TH_ATOMIC_RETURN scope:SCOPE_SYS
	s_wait_loadcnt 0x0
	global_inv scope:SCOPE_SYS
	s_wait_xcnt 0x0
	v_cmpx_ne_u64_e64 v[6:7], v[28:29]
	s_cbranch_execz .LBB4_753
; %bb.750:                              ;   in Loop: Header=BB4_3 Depth=1
	s_mov_b32 s15, 0
.LBB4_751:                              ;   Parent Loop BB4_3 Depth=1
                                        ; =>  This Inner Loop Header: Depth=2
	s_sleep 1
	s_clause 0x1
	global_load_b64 v[16:17], v1, s[12:13] offset:40
	global_load_b64 v[20:21], v1, s[12:13]
	v_mov_b64_e32 v[28:29], v[6:7]
	s_wait_loadcnt 0x1
	s_delay_alu instid0(VALU_DEP_1) | instskip(SKIP_1) | instid1(VALU_DEP_1)
	v_and_b32_e32 v0, v16, v28
	s_wait_loadcnt 0x0
	v_mad_nc_u64_u32 v[6:7], v0, 24, v[20:21]
	s_delay_alu instid0(VALU_DEP_3) | instskip(NEXT) | instid1(VALU_DEP_1)
	v_and_b32_e32 v0, v17, v29
	v_mad_u32 v7, v0, 24, v7
	global_load_b64 v[26:27], v[6:7], off scope:SCOPE_SYS
	s_wait_xcnt 0x0
	s_wait_loadcnt 0x0
	global_atomic_cmpswap_b64 v[6:7], v1, v[26:29], s[12:13] offset:24 th:TH_ATOMIC_RETURN scope:SCOPE_SYS
	s_wait_loadcnt 0x0
	global_inv scope:SCOPE_SYS
	v_cmp_eq_u64_e32 vcc_lo, v[6:7], v[28:29]
	s_or_b32 s15, vcc_lo, s15
	s_wait_xcnt 0x0
	s_and_not1_b32 exec_lo, exec_lo, s15
	s_cbranch_execnz .LBB4_751
; %bb.752:                              ;   in Loop: Header=BB4_3 Depth=1
	s_or_b32 exec_lo, exec_lo, s15
.LBB4_753:                              ;   in Loop: Header=BB4_3 Depth=1
	s_delay_alu instid0(SALU_CYCLE_1)
	s_or_b32 exec_lo, exec_lo, s14
.LBB4_754:                              ;   in Loop: Header=BB4_3 Depth=1
	s_delay_alu instid0(SALU_CYCLE_1)
	s_or_b32 exec_lo, exec_lo, s3
	global_load_b64 v[16:17], v1, s[12:13] offset:40
	s_wait_loadcnt 0x1
	global_load_b128 v[28:31], v1, s[12:13]
	v_readfirstlane_b32 s14, v6
	v_readfirstlane_b32 s15, v7
	s_mov_b32 s3, exec_lo
	s_wait_loadcnt 0x1
	v_and_b32_e32 v16, s14, v16
	v_and_b32_e32 v17, s15, v17
	s_delay_alu instid0(VALU_DEP_1) | instskip(SKIP_1) | instid1(VALU_DEP_1)
	v_mul_u64_e32 v[6:7], 24, v[16:17]
	s_wait_loadcnt 0x0
	v_add_nc_u64_e32 v[6:7], v[28:29], v[6:7]
	s_wait_xcnt 0x0
	s_and_saveexec_b32 s16, s2
	s_cbranch_execz .LBB4_756
; %bb.755:                              ;   in Loop: Header=BB4_3 Depth=1
	v_mov_b32_e32 v0, s3
	global_store_b128 v[6:7], v[0:3], off offset:8
.LBB4_756:                              ;   in Loop: Header=BB4_3 Depth=1
	s_wait_xcnt 0x0
	s_or_b32 exec_lo, exec_lo, s16
	v_lshlrev_b64_e32 v[16:17], 12, v[16:17]
	v_and_or_b32 v24, 0xffffff1f, v24, 32
	v_dual_mov_b32 v26, v1 :: v_dual_mov_b32 v27, v1
	s_delay_alu instid0(VALU_DEP_3) | instskip(SKIP_2) | instid1(VALU_DEP_3)
	v_add_nc_u64_e32 v[16:17], v[30:31], v[16:17]
	v_mov_b64_e32 v[32:33], s[6:7]
	v_mov_b64_e32 v[30:31], s[4:5]
	v_readfirstlane_b32 s16, v16
	s_delay_alu instid0(VALU_DEP_4)
	v_readfirstlane_b32 s17, v17
	s_clause 0x3
	global_store_b128 v50, v[24:27], s[16:17]
	global_store_b128 v50, v[30:33], s[16:17] offset:16
	global_store_b128 v50, v[30:33], s[16:17] offset:32
	;; [unrolled: 1-line block ×3, first 2 shown]
	s_wait_xcnt 0x0
	s_and_saveexec_b32 s3, s2
	s_cbranch_execz .LBB4_764
; %bb.757:                              ;   in Loop: Header=BB4_3 Depth=1
	s_clause 0x1
	global_load_b64 v[30:31], v1, s[12:13] offset:32 scope:SCOPE_SYS
	global_load_b64 v[20:21], v1, s[12:13] offset:40
	s_mov_b32 s16, exec_lo
	s_wait_loadcnt 0x0
	v_and_b32_e32 v20, s14, v20
	v_and_b32_e32 v21, s15, v21
	s_delay_alu instid0(VALU_DEP_1) | instskip(NEXT) | instid1(VALU_DEP_1)
	v_mul_u64_e32 v[20:21], 24, v[20:21]
	v_add_nc_u64_e32 v[20:21], v[28:29], v[20:21]
	v_dual_mov_b32 v28, s14 :: v_dual_mov_b32 v29, s15
	global_store_b64 v[20:21], v[30:31], off
	global_wb scope:SCOPE_SYS
	s_wait_storecnt 0x0
	s_wait_xcnt 0x0
	global_atomic_cmpswap_b64 v[26:27], v1, v[28:31], s[12:13] offset:32 th:TH_ATOMIC_RETURN scope:SCOPE_SYS
	s_wait_loadcnt 0x0
	s_wait_xcnt 0x0
	v_cmpx_ne_u64_e64 v[26:27], v[30:31]
	s_cbranch_execz .LBB4_760
; %bb.758:                              ;   in Loop: Header=BB4_3 Depth=1
	s_mov_b32 s17, 0
.LBB4_759:                              ;   Parent Loop BB4_3 Depth=1
                                        ; =>  This Inner Loop Header: Depth=2
	v_dual_mov_b32 v24, s14 :: v_dual_mov_b32 v25, s15
	s_sleep 1
	global_store_b64 v[20:21], v[26:27], off
	global_wb scope:SCOPE_SYS
	s_wait_storecnt 0x0
	s_wait_xcnt 0x0
	global_atomic_cmpswap_b64 v[24:25], v1, v[24:27], s[12:13] offset:32 th:TH_ATOMIC_RETURN scope:SCOPE_SYS
	s_wait_loadcnt 0x0
	v_cmp_eq_u64_e32 vcc_lo, v[24:25], v[26:27]
	s_wait_xcnt 0x0
	v_mov_b64_e32 v[26:27], v[24:25]
	s_or_b32 s17, vcc_lo, s17
	s_delay_alu instid0(SALU_CYCLE_1)
	s_and_not1_b32 exec_lo, exec_lo, s17
	s_cbranch_execnz .LBB4_759
.LBB4_760:                              ;   in Loop: Header=BB4_3 Depth=1
	s_or_b32 exec_lo, exec_lo, s16
	global_load_b64 v[20:21], v1, s[12:13] offset:16
	s_mov_b32 s17, exec_lo
	s_mov_b32 s16, exec_lo
	v_mbcnt_lo_u32_b32 v0, s17, 0
	s_wait_xcnt 0x0
	s_delay_alu instid0(VALU_DEP_1)
	v_cmpx_eq_u32_e32 0, v0
	s_cbranch_execz .LBB4_762
; %bb.761:                              ;   in Loop: Header=BB4_3 Depth=1
	s_bcnt1_i32_b32 s17, s17
	s_delay_alu instid0(SALU_CYCLE_1)
	v_mov_b32_e32 v0, s17
	global_wb scope:SCOPE_SYS
	s_wait_loadcnt 0x0
	s_wait_storecnt 0x0
	global_atomic_add_u64 v[20:21], v[0:1], off offset:8 scope:SCOPE_SYS
.LBB4_762:                              ;   in Loop: Header=BB4_3 Depth=1
	s_wait_xcnt 0x0
	s_or_b32 exec_lo, exec_lo, s16
	s_wait_loadcnt 0x0
	global_load_b64 v[24:25], v[20:21], off offset:16
	s_wait_loadcnt 0x0
	v_cmp_eq_u64_e32 vcc_lo, 0, v[24:25]
	s_cbranch_vccnz .LBB4_764
; %bb.763:                              ;   in Loop: Header=BB4_3 Depth=1
	global_load_b32 v0, v[20:21], off offset:24
	s_wait_loadcnt 0x0
	v_readfirstlane_b32 s16, v0
	global_wb scope:SCOPE_SYS
	s_wait_storecnt 0x0
	s_wait_xcnt 0x0
	global_store_b64 v[24:25], v[0:1], off scope:SCOPE_SYS
	s_and_b32 m0, s16, 0xffffff
	s_sendmsg sendmsg(MSG_INTERRUPT)
.LBB4_764:                              ;   in Loop: Header=BB4_3 Depth=1
	s_wait_xcnt 0x0
	s_or_b32 exec_lo, exec_lo, s3
	v_mov_b32_e32 v51, v1
	s_delay_alu instid0(VALU_DEP_1)
	v_add_nc_u64_e32 v[16:17], v[16:17], v[50:51]
	s_branch .LBB4_768
.LBB4_765:                              ;   in Loop: Header=BB4_768 Depth=2
	s_wait_xcnt 0x0
	s_or_b32 exec_lo, exec_lo, s3
	s_delay_alu instid0(VALU_DEP_1)
	v_readfirstlane_b32 s3, v0
	s_cmp_eq_u32 s3, 0
	s_cbranch_scc1 .LBB4_767
; %bb.766:                              ;   in Loop: Header=BB4_768 Depth=2
	s_sleep 1
	s_cbranch_execnz .LBB4_768
	s_branch .LBB4_770
.LBB4_767:                              ;   in Loop: Header=BB4_3 Depth=1
	s_branch .LBB4_770
.LBB4_768:                              ;   Parent Loop BB4_3 Depth=1
                                        ; =>  This Inner Loop Header: Depth=2
	v_mov_b32_e32 v0, 1
	s_and_saveexec_b32 s3, s2
	s_cbranch_execz .LBB4_765
; %bb.769:                              ;   in Loop: Header=BB4_768 Depth=2
	global_load_b32 v0, v[6:7], off offset:20 scope:SCOPE_SYS
	s_wait_loadcnt 0x0
	global_inv scope:SCOPE_SYS
	v_and_b32_e32 v0, 1, v0
	s_branch .LBB4_765
.LBB4_770:                              ;   in Loop: Header=BB4_3 Depth=1
	global_load_b64 v[26:27], v[16:17], off
	s_wait_xcnt 0x0
	s_and_saveexec_b32 s16, s2
	s_cbranch_execz .LBB4_774
; %bb.771:                              ;   in Loop: Header=BB4_3 Depth=1
	s_clause 0x2
	global_load_b64 v[6:7], v1, s[12:13] offset:40
	global_load_b64 v[32:33], v1, s[12:13] offset:24 scope:SCOPE_SYS
	global_load_b64 v[16:17], v1, s[12:13]
	s_wait_loadcnt 0x2
	v_readfirstlane_b32 s18, v6
	v_readfirstlane_b32 s19, v7
	s_add_nc_u64 s[2:3], s[18:19], 1
	s_delay_alu instid0(SALU_CYCLE_1) | instskip(NEXT) | instid1(SALU_CYCLE_1)
	s_add_nc_u64 s[14:15], s[2:3], s[14:15]
	s_cmp_eq_u64 s[14:15], 0
	s_cselect_b32 s3, s3, s15
	s_cselect_b32 s2, s2, s14
	s_delay_alu instid0(SALU_CYCLE_1) | instskip(SKIP_1) | instid1(SALU_CYCLE_1)
	v_dual_mov_b32 v31, s3 :: v_dual_mov_b32 v30, s2
	s_and_b64 s[14:15], s[2:3], s[18:19]
	s_mul_u64 s[14:15], s[14:15], 24
	s_wait_loadcnt 0x0
	v_add_nc_u64_e32 v[6:7], s[14:15], v[16:17]
	global_store_b64 v[6:7], v[32:33], off
	global_wb scope:SCOPE_SYS
	s_wait_storecnt 0x0
	s_wait_xcnt 0x0
	global_atomic_cmpswap_b64 v[30:31], v1, v[30:33], s[12:13] offset:24 th:TH_ATOMIC_RETURN scope:SCOPE_SYS
	s_wait_loadcnt 0x0
	v_cmp_ne_u64_e32 vcc_lo, v[30:31], v[32:33]
	s_wait_xcnt 0x0
	s_and_b32 exec_lo, exec_lo, vcc_lo
	s_cbranch_execz .LBB4_774
; %bb.772:                              ;   in Loop: Header=BB4_3 Depth=1
	s_mov_b32 s14, 0
.LBB4_773:                              ;   Parent Loop BB4_3 Depth=1
                                        ; =>  This Inner Loop Header: Depth=2
	v_dual_mov_b32 v28, s2 :: v_dual_mov_b32 v29, s3
	s_sleep 1
	global_store_b64 v[6:7], v[30:31], off
	global_wb scope:SCOPE_SYS
	s_wait_storecnt 0x0
	s_wait_xcnt 0x0
	global_atomic_cmpswap_b64 v[16:17], v1, v[28:31], s[12:13] offset:24 th:TH_ATOMIC_RETURN scope:SCOPE_SYS
	s_wait_loadcnt 0x0
	v_cmp_eq_u64_e32 vcc_lo, v[16:17], v[30:31]
	s_wait_xcnt 0x0
	v_mov_b64_e32 v[30:31], v[16:17]
	s_or_b32 s14, vcc_lo, s14
	s_delay_alu instid0(SALU_CYCLE_1)
	s_and_not1_b32 exec_lo, exec_lo, s14
	s_cbranch_execnz .LBB4_773
.LBB4_774:                              ;   in Loop: Header=BB4_3 Depth=1
	s_or_b32 exec_lo, exec_lo, s16
.LBB4_775:                              ;   in Loop: Header=BB4_3 Depth=1
	v_readfirstlane_b32 s2, v46
	v_mov_b64_e32 v[6:7], 0
	s_delay_alu instid0(VALU_DEP_2)
	v_cmp_eq_u32_e64 s2, s2, v46
	s_and_saveexec_b32 s3, s2
	s_cbranch_execz .LBB4_781
; %bb.776:                              ;   in Loop: Header=BB4_3 Depth=1
	global_load_b64 v[30:31], v1, s[12:13] offset:24 scope:SCOPE_SYS
	s_wait_loadcnt 0x0
	global_inv scope:SCOPE_SYS
	s_clause 0x1
	global_load_b64 v[6:7], v1, s[12:13] offset:40
	global_load_b64 v[16:17], v1, s[12:13]
	s_mov_b32 s14, exec_lo
	s_wait_loadcnt 0x1
	v_and_b32_e32 v6, v6, v30
	v_and_b32_e32 v7, v7, v31
	s_delay_alu instid0(VALU_DEP_1) | instskip(SKIP_1) | instid1(VALU_DEP_1)
	v_mul_u64_e32 v[6:7], 24, v[6:7]
	s_wait_loadcnt 0x0
	v_add_nc_u64_e32 v[6:7], v[16:17], v[6:7]
	global_load_b64 v[28:29], v[6:7], off scope:SCOPE_SYS
	s_wait_xcnt 0x0
	s_wait_loadcnt 0x0
	global_atomic_cmpswap_b64 v[6:7], v1, v[28:31], s[12:13] offset:24 th:TH_ATOMIC_RETURN scope:SCOPE_SYS
	s_wait_loadcnt 0x0
	global_inv scope:SCOPE_SYS
	s_wait_xcnt 0x0
	v_cmpx_ne_u64_e64 v[6:7], v[30:31]
	s_cbranch_execz .LBB4_780
; %bb.777:                              ;   in Loop: Header=BB4_3 Depth=1
	s_mov_b32 s15, 0
.LBB4_778:                              ;   Parent Loop BB4_3 Depth=1
                                        ; =>  This Inner Loop Header: Depth=2
	s_sleep 1
	s_clause 0x1
	global_load_b64 v[16:17], v1, s[12:13] offset:40
	global_load_b64 v[20:21], v1, s[12:13]
	v_mov_b64_e32 v[30:31], v[6:7]
	s_wait_loadcnt 0x1
	s_delay_alu instid0(VALU_DEP_1) | instskip(SKIP_1) | instid1(VALU_DEP_1)
	v_and_b32_e32 v0, v16, v30
	s_wait_loadcnt 0x0
	v_mad_nc_u64_u32 v[6:7], v0, 24, v[20:21]
	s_delay_alu instid0(VALU_DEP_3) | instskip(NEXT) | instid1(VALU_DEP_1)
	v_and_b32_e32 v0, v17, v31
	v_mad_u32 v7, v0, 24, v7
	global_load_b64 v[28:29], v[6:7], off scope:SCOPE_SYS
	s_wait_xcnt 0x0
	s_wait_loadcnt 0x0
	global_atomic_cmpswap_b64 v[6:7], v1, v[28:31], s[12:13] offset:24 th:TH_ATOMIC_RETURN scope:SCOPE_SYS
	s_wait_loadcnt 0x0
	global_inv scope:SCOPE_SYS
	v_cmp_eq_u64_e32 vcc_lo, v[6:7], v[30:31]
	s_or_b32 s15, vcc_lo, s15
	s_wait_xcnt 0x0
	s_and_not1_b32 exec_lo, exec_lo, s15
	s_cbranch_execnz .LBB4_778
; %bb.779:                              ;   in Loop: Header=BB4_3 Depth=1
	s_or_b32 exec_lo, exec_lo, s15
.LBB4_780:                              ;   in Loop: Header=BB4_3 Depth=1
	s_delay_alu instid0(SALU_CYCLE_1)
	s_or_b32 exec_lo, exec_lo, s14
.LBB4_781:                              ;   in Loop: Header=BB4_3 Depth=1
	s_delay_alu instid0(SALU_CYCLE_1)
	s_or_b32 exec_lo, exec_lo, s3
	s_clause 0x1
	global_load_b64 v[16:17], v1, s[12:13] offset:40
	global_load_b128 v[30:33], v1, s[12:13]
	v_readfirstlane_b32 s14, v6
	v_readfirstlane_b32 s15, v7
	s_mov_b32 s3, exec_lo
	s_wait_loadcnt 0x1
	v_and_b32_e32 v16, s14, v16
	v_and_b32_e32 v17, s15, v17
	s_delay_alu instid0(VALU_DEP_1) | instskip(SKIP_1) | instid1(VALU_DEP_1)
	v_mul_u64_e32 v[6:7], 24, v[16:17]
	s_wait_loadcnt 0x0
	v_add_nc_u64_e32 v[6:7], v[30:31], v[6:7]
	s_wait_xcnt 0x0
	s_and_saveexec_b32 s16, s2
	s_cbranch_execz .LBB4_783
; %bb.782:                              ;   in Loop: Header=BB4_3 Depth=1
	v_mov_b32_e32 v0, s3
	global_store_b128 v[6:7], v[0:3], off offset:8
.LBB4_783:                              ;   in Loop: Header=BB4_3 Depth=1
	s_wait_xcnt 0x0
	s_or_b32 exec_lo, exec_lo, s16
	v_lshlrev_b64_e32 v[16:17], 12, v[16:17]
	v_mul_lo_u32 v40, v22, v18
	v_and_or_b32 v26, 0xffffff1d, v26, 34
	v_dual_mov_b32 v29, v1 :: v_dual_mov_b32 v41, v1
	s_delay_alu instid0(VALU_DEP_4) | instskip(SKIP_3) | instid1(VALU_DEP_4)
	v_add_nc_u64_e32 v[20:21], v[32:33], v[16:17]
	v_mov_b64_e32 v[18:19], s[6:7]
	v_mov_b64_e32 v[16:17], s[4:5]
	v_mov_b32_e32 v28, v40
	v_readfirstlane_b32 s16, v20
	v_readfirstlane_b32 s17, v21
	s_clause 0x3
	global_store_b128 v50, v[26:29], s[16:17]
	global_store_b128 v50, v[16:19], s[16:17] offset:16
	global_store_b128 v50, v[16:19], s[16:17] offset:32
	;; [unrolled: 1-line block ×3, first 2 shown]
	s_wait_xcnt 0x0
	s_and_saveexec_b32 s3, s2
	s_cbranch_execz .LBB4_791
; %bb.784:                              ;   in Loop: Header=BB4_3 Depth=1
	s_clause 0x1
	global_load_b64 v[26:27], v1, s[12:13] offset:32 scope:SCOPE_SYS
	global_load_b64 v[16:17], v1, s[12:13] offset:40
	s_mov_b32 s16, exec_lo
	v_dual_mov_b32 v24, s14 :: v_dual_mov_b32 v25, s15
	s_wait_loadcnt 0x0
	v_and_b32_e32 v17, s15, v17
	v_and_b32_e32 v16, s14, v16
	s_delay_alu instid0(VALU_DEP_1) | instskip(NEXT) | instid1(VALU_DEP_1)
	v_mul_u64_e32 v[16:17], 24, v[16:17]
	v_add_nc_u64_e32 v[22:23], v[30:31], v[16:17]
	global_store_b64 v[22:23], v[26:27], off
	global_wb scope:SCOPE_SYS
	s_wait_storecnt 0x0
	s_wait_xcnt 0x0
	global_atomic_cmpswap_b64 v[18:19], v1, v[24:27], s[12:13] offset:32 th:TH_ATOMIC_RETURN scope:SCOPE_SYS
	s_wait_loadcnt 0x0
	s_wait_xcnt 0x0
	v_cmpx_ne_u64_e64 v[18:19], v[26:27]
	s_cbranch_execz .LBB4_787
; %bb.785:                              ;   in Loop: Header=BB4_3 Depth=1
	s_mov_b32 s17, 0
.LBB4_786:                              ;   Parent Loop BB4_3 Depth=1
                                        ; =>  This Inner Loop Header: Depth=2
	v_dual_mov_b32 v16, s14 :: v_dual_mov_b32 v17, s15
	s_sleep 1
	global_store_b64 v[22:23], v[18:19], off
	global_wb scope:SCOPE_SYS
	s_wait_storecnt 0x0
	s_wait_xcnt 0x0
	global_atomic_cmpswap_b64 v[16:17], v1, v[16:19], s[12:13] offset:32 th:TH_ATOMIC_RETURN scope:SCOPE_SYS
	s_wait_loadcnt 0x0
	v_cmp_eq_u64_e32 vcc_lo, v[16:17], v[18:19]
	s_wait_xcnt 0x0
	v_mov_b64_e32 v[18:19], v[16:17]
	s_or_b32 s17, vcc_lo, s17
	s_delay_alu instid0(SALU_CYCLE_1)
	s_and_not1_b32 exec_lo, exec_lo, s17
	s_cbranch_execnz .LBB4_786
.LBB4_787:                              ;   in Loop: Header=BB4_3 Depth=1
	s_or_b32 exec_lo, exec_lo, s16
	global_load_b64 v[16:17], v1, s[12:13] offset:16
	s_mov_b32 s17, exec_lo
	s_mov_b32 s16, exec_lo
	v_mbcnt_lo_u32_b32 v0, s17, 0
	s_wait_xcnt 0x0
	s_delay_alu instid0(VALU_DEP_1)
	v_cmpx_eq_u32_e32 0, v0
	s_cbranch_execz .LBB4_789
; %bb.788:                              ;   in Loop: Header=BB4_3 Depth=1
	s_bcnt1_i32_b32 s17, s17
	s_delay_alu instid0(SALU_CYCLE_1)
	v_mov_b32_e32 v0, s17
	global_wb scope:SCOPE_SYS
	s_wait_loadcnt 0x0
	s_wait_storecnt 0x0
	global_atomic_add_u64 v[16:17], v[0:1], off offset:8 scope:SCOPE_SYS
.LBB4_789:                              ;   in Loop: Header=BB4_3 Depth=1
	s_wait_xcnt 0x0
	s_or_b32 exec_lo, exec_lo, s16
	s_wait_loadcnt 0x0
	global_load_b64 v[18:19], v[16:17], off offset:16
	s_wait_loadcnt 0x0
	v_cmp_eq_u64_e32 vcc_lo, 0, v[18:19]
	s_cbranch_vccnz .LBB4_791
; %bb.790:                              ;   in Loop: Header=BB4_3 Depth=1
	global_load_b32 v0, v[16:17], off offset:24
	s_wait_loadcnt 0x0
	v_readfirstlane_b32 s16, v0
	global_wb scope:SCOPE_SYS
	s_wait_storecnt 0x0
	s_wait_xcnt 0x0
	global_store_b64 v[18:19], v[0:1], off scope:SCOPE_SYS
	s_and_b32 m0, s16, 0xffffff
	s_sendmsg sendmsg(MSG_INTERRUPT)
.LBB4_791:                              ;   in Loop: Header=BB4_3 Depth=1
	s_wait_xcnt 0x0
	s_or_b32 exec_lo, exec_lo, s3
	v_mov_b32_e32 v51, v1
	s_delay_alu instid0(VALU_DEP_1)
	v_add_nc_u64_e32 v[16:17], v[20:21], v[50:51]
	s_branch .LBB4_795
.LBB4_792:                              ;   in Loop: Header=BB4_795 Depth=2
	s_wait_xcnt 0x0
	s_or_b32 exec_lo, exec_lo, s3
	s_delay_alu instid0(VALU_DEP_1)
	v_readfirstlane_b32 s3, v0
	s_cmp_eq_u32 s3, 0
	s_cbranch_scc1 .LBB4_794
; %bb.793:                              ;   in Loop: Header=BB4_795 Depth=2
	s_sleep 1
	s_cbranch_execnz .LBB4_795
	s_branch .LBB4_797
.LBB4_794:                              ;   in Loop: Header=BB4_3 Depth=1
	s_branch .LBB4_797
.LBB4_795:                              ;   Parent Loop BB4_3 Depth=1
                                        ; =>  This Inner Loop Header: Depth=2
	v_mov_b32_e32 v0, 1
	s_and_saveexec_b32 s3, s2
	s_cbranch_execz .LBB4_792
; %bb.796:                              ;   in Loop: Header=BB4_795 Depth=2
	global_load_b32 v0, v[6:7], off offset:20 scope:SCOPE_SYS
	s_wait_loadcnt 0x0
	global_inv scope:SCOPE_SYS
	v_and_b32_e32 v0, 1, v0
	s_branch .LBB4_792
.LBB4_797:                              ;   in Loop: Header=BB4_3 Depth=1
	global_load_b64 v[38:39], v[16:17], off
	s_wait_xcnt 0x0
	s_and_saveexec_b32 s16, s2
	s_cbranch_execz .LBB4_801
; %bb.798:                              ;   in Loop: Header=BB4_3 Depth=1
	s_clause 0x2
	global_load_b64 v[6:7], v1, s[12:13] offset:40
	global_load_b64 v[20:21], v1, s[12:13] offset:24 scope:SCOPE_SYS
	global_load_b64 v[16:17], v1, s[12:13]
	s_wait_loadcnt 0x2
	v_readfirstlane_b32 s18, v6
	v_readfirstlane_b32 s19, v7
	s_add_nc_u64 s[2:3], s[18:19], 1
	s_delay_alu instid0(SALU_CYCLE_1) | instskip(NEXT) | instid1(SALU_CYCLE_1)
	s_add_nc_u64 s[14:15], s[2:3], s[14:15]
	s_cmp_eq_u64 s[14:15], 0
	s_cselect_b32 s3, s3, s15
	s_cselect_b32 s2, s2, s14
	s_delay_alu instid0(SALU_CYCLE_1) | instskip(SKIP_1) | instid1(SALU_CYCLE_1)
	v_dual_mov_b32 v19, s3 :: v_dual_mov_b32 v18, s2
	s_and_b64 s[14:15], s[2:3], s[18:19]
	s_mul_u64 s[14:15], s[14:15], 24
	s_wait_loadcnt 0x0
	v_add_nc_u64_e32 v[6:7], s[14:15], v[16:17]
	global_store_b64 v[6:7], v[20:21], off
	global_wb scope:SCOPE_SYS
	s_wait_storecnt 0x0
	s_wait_xcnt 0x0
	global_atomic_cmpswap_b64 v[18:19], v1, v[18:21], s[12:13] offset:24 th:TH_ATOMIC_RETURN scope:SCOPE_SYS
	s_wait_loadcnt 0x0
	v_cmp_ne_u64_e32 vcc_lo, v[18:19], v[20:21]
	s_and_b32 exec_lo, exec_lo, vcc_lo
	s_cbranch_execz .LBB4_801
; %bb.799:                              ;   in Loop: Header=BB4_3 Depth=1
	s_mov_b32 s14, 0
.LBB4_800:                              ;   Parent Loop BB4_3 Depth=1
                                        ; =>  This Inner Loop Header: Depth=2
	v_dual_mov_b32 v16, s2 :: v_dual_mov_b32 v17, s3
	s_sleep 1
	global_store_b64 v[6:7], v[18:19], off
	global_wb scope:SCOPE_SYS
	s_wait_storecnt 0x0
	s_wait_xcnt 0x0
	global_atomic_cmpswap_b64 v[16:17], v1, v[16:19], s[12:13] offset:24 th:TH_ATOMIC_RETURN scope:SCOPE_SYS
	s_wait_loadcnt 0x0
	v_cmp_eq_u64_e32 vcc_lo, v[16:17], v[18:19]
	v_mov_b64_e32 v[18:19], v[16:17]
	s_or_b32 s14, vcc_lo, s14
	s_delay_alu instid0(SALU_CYCLE_1)
	s_and_not1_b32 exec_lo, exec_lo, s14
	s_cbranch_execnz .LBB4_800
.LBB4_801:                              ;   in Loop: Header=BB4_3 Depth=1
	s_or_b32 exec_lo, exec_lo, s16
	v_readfirstlane_b32 s2, v46
	v_mov_b64_e32 v[6:7], 0
	s_delay_alu instid0(VALU_DEP_2)
	v_cmp_eq_u32_e64 s2, s2, v46
	s_and_saveexec_b32 s3, s2
	s_cbranch_execz .LBB4_807
; %bb.802:                              ;   in Loop: Header=BB4_3 Depth=1
	global_load_b64 v[18:19], v1, s[12:13] offset:24 scope:SCOPE_SYS
	s_wait_loadcnt 0x0
	global_inv scope:SCOPE_SYS
	s_clause 0x1
	global_load_b64 v[6:7], v1, s[12:13] offset:40
	global_load_b64 v[16:17], v1, s[12:13]
	s_mov_b32 s14, exec_lo
	s_wait_loadcnt 0x1
	v_and_b32_e32 v6, v6, v18
	v_and_b32_e32 v7, v7, v19
	s_delay_alu instid0(VALU_DEP_1) | instskip(SKIP_1) | instid1(VALU_DEP_1)
	v_mul_u64_e32 v[6:7], 24, v[6:7]
	s_wait_loadcnt 0x0
	v_add_nc_u64_e32 v[6:7], v[16:17], v[6:7]
	global_load_b64 v[16:17], v[6:7], off scope:SCOPE_SYS
	s_wait_xcnt 0x0
	s_wait_loadcnt 0x0
	global_atomic_cmpswap_b64 v[6:7], v1, v[16:19], s[12:13] offset:24 th:TH_ATOMIC_RETURN scope:SCOPE_SYS
	s_wait_loadcnt 0x0
	global_inv scope:SCOPE_SYS
	s_wait_xcnt 0x0
	v_cmpx_ne_u64_e64 v[6:7], v[18:19]
	s_cbranch_execz .LBB4_806
; %bb.803:                              ;   in Loop: Header=BB4_3 Depth=1
	s_mov_b32 s15, 0
.LBB4_804:                              ;   Parent Loop BB4_3 Depth=1
                                        ; =>  This Inner Loop Header: Depth=2
	s_sleep 1
	s_clause 0x1
	global_load_b64 v[16:17], v1, s[12:13] offset:40
	global_load_b64 v[20:21], v1, s[12:13]
	v_mov_b64_e32 v[18:19], v[6:7]
	s_wait_loadcnt 0x1
	s_delay_alu instid0(VALU_DEP_1) | instskip(SKIP_1) | instid1(VALU_DEP_1)
	v_and_b32_e32 v0, v16, v18
	s_wait_loadcnt 0x0
	v_mad_nc_u64_u32 v[6:7], v0, 24, v[20:21]
	s_delay_alu instid0(VALU_DEP_3) | instskip(NEXT) | instid1(VALU_DEP_1)
	v_and_b32_e32 v0, v17, v19
	v_mad_u32 v7, v0, 24, v7
	global_load_b64 v[16:17], v[6:7], off scope:SCOPE_SYS
	s_wait_xcnt 0x0
	s_wait_loadcnt 0x0
	global_atomic_cmpswap_b64 v[6:7], v1, v[16:19], s[12:13] offset:24 th:TH_ATOMIC_RETURN scope:SCOPE_SYS
	s_wait_loadcnt 0x0
	global_inv scope:SCOPE_SYS
	v_cmp_eq_u64_e32 vcc_lo, v[6:7], v[18:19]
	s_or_b32 s15, vcc_lo, s15
	s_wait_xcnt 0x0
	s_and_not1_b32 exec_lo, exec_lo, s15
	s_cbranch_execnz .LBB4_804
; %bb.805:                              ;   in Loop: Header=BB4_3 Depth=1
	s_or_b32 exec_lo, exec_lo, s15
.LBB4_806:                              ;   in Loop: Header=BB4_3 Depth=1
	s_delay_alu instid0(SALU_CYCLE_1)
	s_or_b32 exec_lo, exec_lo, s14
.LBB4_807:                              ;   in Loop: Header=BB4_3 Depth=1
	s_delay_alu instid0(SALU_CYCLE_1)
	s_or_b32 exec_lo, exec_lo, s3
	s_clause 0x1
	global_load_b64 v[20:21], v1, s[12:13] offset:40
	global_load_b128 v[16:19], v1, s[12:13]
	v_readfirstlane_b32 s14, v6
	v_readfirstlane_b32 s15, v7
	s_mov_b32 s3, exec_lo
	s_wait_loadcnt 0x1
	v_and_b32_e32 v6, s14, v20
	v_and_b32_e32 v7, s15, v21
	s_delay_alu instid0(VALU_DEP_1) | instskip(SKIP_1) | instid1(VALU_DEP_1)
	v_mul_u64_e32 v[20:21], 24, v[6:7]
	s_wait_loadcnt 0x0
	v_add_nc_u64_e32 v[20:21], v[16:17], v[20:21]
	s_wait_xcnt 0x0
	s_and_saveexec_b32 s16, s2
	s_cbranch_execz .LBB4_809
; %bb.808:                              ;   in Loop: Header=BB4_3 Depth=1
	v_mov_b32_e32 v0, s3
	global_store_b128 v[20:21], v[0:3], off offset:8
.LBB4_809:                              ;   in Loop: Header=BB4_3 Depth=1
	s_wait_xcnt 0x0
	s_or_b32 exec_lo, exec_lo, s16
	v_lshlrev_b64_e32 v[6:7], 12, v[6:7]
	v_mov_b64_e32 v[26:27], s[6:7]
	v_mov_b64_e32 v[24:25], s[4:5]
	v_mov_b32_e32 v5, v1
	s_delay_alu instid0(VALU_DEP_4) | instskip(SKIP_1) | instid1(VALU_DEP_2)
	v_add_nc_u64_e32 v[22:23], v[18:19], v[6:7]
	v_dual_mov_b32 v6, v1 :: v_dual_mov_b32 v7, v1
	v_readfirstlane_b32 s16, v22
	s_delay_alu instid0(VALU_DEP_3)
	v_readfirstlane_b32 s17, v23
	s_clause 0x3
	global_store_b128 v50, v[4:7], s[16:17]
	global_store_b128 v50, v[24:27], s[16:17] offset:16
	global_store_b128 v50, v[24:27], s[16:17] offset:32
	;; [unrolled: 1-line block ×3, first 2 shown]
	s_wait_xcnt 0x0
	s_and_saveexec_b32 s3, s2
	s_cbranch_execz .LBB4_817
; %bb.810:                              ;   in Loop: Header=BB4_3 Depth=1
	s_clause 0x1
	global_load_b64 v[26:27], v1, s[12:13] offset:32 scope:SCOPE_SYS
	global_load_b64 v[6:7], v1, s[12:13] offset:40
	s_mov_b32 s16, exec_lo
	v_dual_mov_b32 v24, s14 :: v_dual_mov_b32 v25, s15
	s_wait_loadcnt 0x0
	v_and_b32_e32 v7, s15, v7
	v_and_b32_e32 v6, s14, v6
	s_delay_alu instid0(VALU_DEP_1) | instskip(NEXT) | instid1(VALU_DEP_1)
	v_mul_u64_e32 v[6:7], 24, v[6:7]
	v_add_nc_u64_e32 v[6:7], v[16:17], v[6:7]
	global_store_b64 v[6:7], v[26:27], off
	global_wb scope:SCOPE_SYS
	s_wait_storecnt 0x0
	s_wait_xcnt 0x0
	global_atomic_cmpswap_b64 v[18:19], v1, v[24:27], s[12:13] offset:32 th:TH_ATOMIC_RETURN scope:SCOPE_SYS
	s_wait_loadcnt 0x0
	v_cmpx_ne_u64_e64 v[18:19], v[26:27]
	s_cbranch_execz .LBB4_813
; %bb.811:                              ;   in Loop: Header=BB4_3 Depth=1
	s_mov_b32 s17, 0
.LBB4_812:                              ;   Parent Loop BB4_3 Depth=1
                                        ; =>  This Inner Loop Header: Depth=2
	v_dual_mov_b32 v16, s14 :: v_dual_mov_b32 v17, s15
	s_sleep 1
	global_store_b64 v[6:7], v[18:19], off
	global_wb scope:SCOPE_SYS
	s_wait_storecnt 0x0
	s_wait_xcnt 0x0
	global_atomic_cmpswap_b64 v[16:17], v1, v[16:19], s[12:13] offset:32 th:TH_ATOMIC_RETURN scope:SCOPE_SYS
	s_wait_loadcnt 0x0
	v_cmp_eq_u64_e32 vcc_lo, v[16:17], v[18:19]
	v_mov_b64_e32 v[18:19], v[16:17]
	s_or_b32 s17, vcc_lo, s17
	s_delay_alu instid0(SALU_CYCLE_1)
	s_and_not1_b32 exec_lo, exec_lo, s17
	s_cbranch_execnz .LBB4_812
.LBB4_813:                              ;   in Loop: Header=BB4_3 Depth=1
	s_or_b32 exec_lo, exec_lo, s16
	global_load_b64 v[6:7], v1, s[12:13] offset:16
	s_mov_b32 s17, exec_lo
	s_mov_b32 s16, exec_lo
	v_mbcnt_lo_u32_b32 v0, s17, 0
	s_wait_xcnt 0x0
	s_delay_alu instid0(VALU_DEP_1)
	v_cmpx_eq_u32_e32 0, v0
	s_cbranch_execz .LBB4_815
; %bb.814:                              ;   in Loop: Header=BB4_3 Depth=1
	s_bcnt1_i32_b32 s17, s17
	s_delay_alu instid0(SALU_CYCLE_1)
	v_mov_b32_e32 v0, s17
	global_wb scope:SCOPE_SYS
	s_wait_loadcnt 0x0
	s_wait_storecnt 0x0
	global_atomic_add_u64 v[6:7], v[0:1], off offset:8 scope:SCOPE_SYS
.LBB4_815:                              ;   in Loop: Header=BB4_3 Depth=1
	s_wait_xcnt 0x0
	s_or_b32 exec_lo, exec_lo, s16
	s_wait_loadcnt 0x0
	global_load_b64 v[16:17], v[6:7], off offset:16
	s_wait_loadcnt 0x0
	v_cmp_eq_u64_e32 vcc_lo, 0, v[16:17]
	s_cbranch_vccnz .LBB4_817
; %bb.816:                              ;   in Loop: Header=BB4_3 Depth=1
	global_load_b32 v0, v[6:7], off offset:24
	s_wait_loadcnt 0x0
	v_readfirstlane_b32 s16, v0
	global_wb scope:SCOPE_SYS
	s_wait_storecnt 0x0
	s_wait_xcnt 0x0
	global_store_b64 v[16:17], v[0:1], off scope:SCOPE_SYS
	s_and_b32 m0, s16, 0xffffff
	s_sendmsg sendmsg(MSG_INTERRUPT)
.LBB4_817:                              ;   in Loop: Header=BB4_3 Depth=1
	s_wait_xcnt 0x0
	s_or_b32 exec_lo, exec_lo, s3
	v_mov_b32_e32 v51, v1
	s_delay_alu instid0(VALU_DEP_1)
	v_add_nc_u64_e32 v[6:7], v[22:23], v[50:51]
	s_branch .LBB4_821
.LBB4_818:                              ;   in Loop: Header=BB4_821 Depth=2
	s_wait_xcnt 0x0
	s_or_b32 exec_lo, exec_lo, s3
	s_delay_alu instid0(VALU_DEP_1)
	v_readfirstlane_b32 s3, v0
	s_cmp_eq_u32 s3, 0
	s_cbranch_scc1 .LBB4_820
; %bb.819:                              ;   in Loop: Header=BB4_821 Depth=2
	s_sleep 1
	s_cbranch_execnz .LBB4_821
	s_branch .LBB4_823
.LBB4_820:                              ;   in Loop: Header=BB4_3 Depth=1
	s_branch .LBB4_823
.LBB4_821:                              ;   Parent Loop BB4_3 Depth=1
                                        ; =>  This Inner Loop Header: Depth=2
	v_mov_b32_e32 v0, 1
	s_and_saveexec_b32 s3, s2
	s_cbranch_execz .LBB4_818
; %bb.822:                              ;   in Loop: Header=BB4_821 Depth=2
	global_load_b32 v0, v[20:21], off offset:20 scope:SCOPE_SYS
	s_wait_loadcnt 0x0
	global_inv scope:SCOPE_SYS
	v_and_b32_e32 v0, 1, v0
	s_branch .LBB4_818
.LBB4_823:                              ;   in Loop: Header=BB4_3 Depth=1
	global_load_b64 v[20:21], v[6:7], off
	s_wait_xcnt 0x0
	s_and_saveexec_b32 s16, s2
	s_cbranch_execz .LBB4_827
; %bb.824:                              ;   in Loop: Header=BB4_3 Depth=1
	s_clause 0x2
	global_load_b64 v[6:7], v1, s[12:13] offset:40
	global_load_b64 v[24:25], v1, s[12:13] offset:24 scope:SCOPE_SYS
	global_load_b64 v[16:17], v1, s[12:13]
	s_wait_loadcnt 0x2
	v_readfirstlane_b32 s18, v6
	v_readfirstlane_b32 s19, v7
	s_add_nc_u64 s[2:3], s[18:19], 1
	s_delay_alu instid0(SALU_CYCLE_1) | instskip(NEXT) | instid1(SALU_CYCLE_1)
	s_add_nc_u64 s[14:15], s[2:3], s[14:15]
	s_cmp_eq_u64 s[14:15], 0
	s_cselect_b32 s3, s3, s15
	s_cselect_b32 s2, s2, s14
	s_delay_alu instid0(SALU_CYCLE_1) | instskip(SKIP_1) | instid1(SALU_CYCLE_1)
	v_dual_mov_b32 v23, s3 :: v_dual_mov_b32 v22, s2
	s_and_b64 s[14:15], s[2:3], s[18:19]
	s_mul_u64 s[14:15], s[14:15], 24
	s_wait_loadcnt 0x0
	v_add_nc_u64_e32 v[6:7], s[14:15], v[16:17]
	global_store_b64 v[6:7], v[24:25], off
	global_wb scope:SCOPE_SYS
	s_wait_storecnt 0x0
	s_wait_xcnt 0x0
	global_atomic_cmpswap_b64 v[18:19], v1, v[22:25], s[12:13] offset:24 th:TH_ATOMIC_RETURN scope:SCOPE_SYS
	s_wait_loadcnt 0x0
	v_cmp_ne_u64_e32 vcc_lo, v[18:19], v[24:25]
	s_and_b32 exec_lo, exec_lo, vcc_lo
	s_cbranch_execz .LBB4_827
; %bb.825:                              ;   in Loop: Header=BB4_3 Depth=1
	s_mov_b32 s14, 0
.LBB4_826:                              ;   Parent Loop BB4_3 Depth=1
                                        ; =>  This Inner Loop Header: Depth=2
	v_dual_mov_b32 v16, s2 :: v_dual_mov_b32 v17, s3
	s_sleep 1
	global_store_b64 v[6:7], v[18:19], off
	global_wb scope:SCOPE_SYS
	s_wait_storecnt 0x0
	s_wait_xcnt 0x0
	global_atomic_cmpswap_b64 v[16:17], v1, v[16:19], s[12:13] offset:24 th:TH_ATOMIC_RETURN scope:SCOPE_SYS
	s_wait_loadcnt 0x0
	v_cmp_eq_u64_e32 vcc_lo, v[16:17], v[18:19]
	v_mov_b64_e32 v[18:19], v[16:17]
	s_or_b32 s14, vcc_lo, s14
	s_delay_alu instid0(SALU_CYCLE_1)
	s_and_not1_b32 exec_lo, exec_lo, s14
	s_cbranch_execnz .LBB4_826
.LBB4_827:                              ;   in Loop: Header=BB4_3 Depth=1
	s_or_b32 exec_lo, exec_lo, s16
	s_delay_alu instid0(SALU_CYCLE_1)
	s_and_b32 vcc_lo, exec_lo, s25
	s_cbranch_vccz .LBB4_985
; %bb.828:                              ;   in Loop: Header=BB4_3 Depth=1
	s_wait_loadcnt 0x0
	v_dual_mov_b32 v17, v21 :: v_dual_bitop2_b32 v6, 2, v20 bitop3:0x40
	v_and_b32_e32 v16, -3, v20
	s_mov_b64 s[16:17], 6
	s_get_pc_i64 s[14:15]
	s_add_nc_u64 s[14:15], s[14:15], .str.7@rel64+4
	s_branch .LBB4_830
.LBB4_829:                              ;   in Loop: Header=BB4_830 Depth=2
	s_or_b32 exec_lo, exec_lo, s22
	s_sub_nc_u64 s[16:17], s[16:17], s[18:19]
	s_add_nc_u64 s[14:15], s[14:15], s[18:19]
	s_cmp_lg_u64 s[16:17], 0
	s_cbranch_scc0 .LBB4_905
.LBB4_830:                              ;   Parent Loop BB4_3 Depth=1
                                        ; =>  This Loop Header: Depth=2
                                        ;       Child Loop BB4_833 Depth 3
                                        ;       Child Loop BB4_840 Depth 3
	;; [unrolled: 1-line block ×11, first 2 shown]
	v_min_u64 v[18:19], s[16:17], 56
	v_cmp_gt_u64_e64 s2, s[16:17], 7
	s_and_b32 vcc_lo, exec_lo, s2
	v_readfirstlane_b32 s18, v18
	v_readfirstlane_b32 s19, v19
	s_cbranch_vccnz .LBB4_835
; %bb.831:                              ;   in Loop: Header=BB4_830 Depth=2
	v_mov_b64_e32 v[18:19], 0
	s_cmp_eq_u64 s[16:17], 0
	s_cbranch_scc1 .LBB4_834
; %bb.832:                              ;   in Loop: Header=BB4_830 Depth=2
	s_mov_b64 s[2:3], 0
	s_mov_b64 s[20:21], 0
.LBB4_833:                              ;   Parent Loop BB4_3 Depth=1
                                        ;     Parent Loop BB4_830 Depth=2
                                        ; =>    This Inner Loop Header: Depth=3
	s_wait_xcnt 0x0
	s_add_nc_u64 s[22:23], s[14:15], s[20:21]
	s_add_nc_u64 s[20:21], s[20:21], 1
	global_load_u8 v0, v1, s[22:23]
	s_cmp_lg_u32 s18, s20
	s_wait_loadcnt 0x0
	v_and_b32_e32 v0, 0xffff, v0
	s_delay_alu instid0(VALU_DEP_1) | instskip(SKIP_1) | instid1(VALU_DEP_1)
	v_lshlrev_b64_e32 v[22:23], s2, v[0:1]
	s_add_nc_u64 s[2:3], s[2:3], 8
	v_or_b32_e32 v18, v22, v18
	s_delay_alu instid0(VALU_DEP_2)
	v_or_b32_e32 v19, v23, v19
	s_cbranch_scc1 .LBB4_833
.LBB4_834:                              ;   in Loop: Header=BB4_830 Depth=2
	s_mov_b64 s[2:3], s[14:15]
	s_mov_b32 s28, 0
	s_cbranch_execz .LBB4_836
	s_branch .LBB4_837
.LBB4_835:                              ;   in Loop: Header=BB4_830 Depth=2
	s_add_nc_u64 s[2:3], s[14:15], 8
	s_mov_b32 s28, 0
.LBB4_836:                              ;   in Loop: Header=BB4_830 Depth=2
	global_load_b64 v[18:19], v1, s[14:15]
	s_add_co_i32 s28, s18, -8
.LBB4_837:                              ;   in Loop: Header=BB4_830 Depth=2
	s_delay_alu instid0(SALU_CYCLE_1)
	s_cmp_gt_u32 s28, 7
	s_cbranch_scc1 .LBB4_842
; %bb.838:                              ;   in Loop: Header=BB4_830 Depth=2
	v_mov_b64_e32 v[22:23], 0
	s_cmp_eq_u32 s28, 0
	s_cbranch_scc1 .LBB4_841
; %bb.839:                              ;   in Loop: Header=BB4_830 Depth=2
	s_mov_b64 s[20:21], 0
	s_wait_xcnt 0x0
	s_mov_b64 s[22:23], 0
.LBB4_840:                              ;   Parent Loop BB4_3 Depth=1
                                        ;     Parent Loop BB4_830 Depth=2
                                        ; =>    This Inner Loop Header: Depth=3
	s_wait_xcnt 0x0
	s_add_nc_u64 s[30:31], s[2:3], s[22:23]
	s_add_nc_u64 s[22:23], s[22:23], 1
	global_load_u8 v0, v1, s[30:31]
	s_cmp_lg_u32 s28, s22
	s_wait_loadcnt 0x0
	v_and_b32_e32 v0, 0xffff, v0
	s_delay_alu instid0(VALU_DEP_1) | instskip(SKIP_1) | instid1(VALU_DEP_1)
	v_lshlrev_b64_e32 v[24:25], s20, v[0:1]
	s_add_nc_u64 s[20:21], s[20:21], 8
	v_or_b32_e32 v22, v24, v22
	s_delay_alu instid0(VALU_DEP_2)
	v_or_b32_e32 v23, v25, v23
	s_cbranch_scc1 .LBB4_840
.LBB4_841:                              ;   in Loop: Header=BB4_830 Depth=2
	s_wait_xcnt 0x0
	s_mov_b64 s[20:21], s[2:3]
	s_mov_b32 s29, 0
	s_cbranch_execz .LBB4_843
	s_branch .LBB4_844
.LBB4_842:                              ;   in Loop: Header=BB4_830 Depth=2
	s_add_nc_u64 s[20:21], s[2:3], 8
	s_wait_xcnt 0x0
                                        ; implicit-def: $vgpr22_vgpr23
	s_mov_b32 s29, 0
.LBB4_843:                              ;   in Loop: Header=BB4_830 Depth=2
	global_load_b64 v[22:23], v1, s[2:3]
	s_add_co_i32 s29, s28, -8
.LBB4_844:                              ;   in Loop: Header=BB4_830 Depth=2
	s_delay_alu instid0(SALU_CYCLE_1)
	s_cmp_gt_u32 s29, 7
	s_cbranch_scc1 .LBB4_849
; %bb.845:                              ;   in Loop: Header=BB4_830 Depth=2
	v_mov_b64_e32 v[24:25], 0
	s_cmp_eq_u32 s29, 0
	s_cbranch_scc1 .LBB4_848
; %bb.846:                              ;   in Loop: Header=BB4_830 Depth=2
	s_wait_xcnt 0x0
	s_mov_b64 s[2:3], 0
	s_mov_b64 s[22:23], 0
.LBB4_847:                              ;   Parent Loop BB4_3 Depth=1
                                        ;     Parent Loop BB4_830 Depth=2
                                        ; =>    This Inner Loop Header: Depth=3
	s_wait_xcnt 0x0
	s_add_nc_u64 s[30:31], s[20:21], s[22:23]
	s_add_nc_u64 s[22:23], s[22:23], 1
	global_load_u8 v0, v1, s[30:31]
	s_cmp_lg_u32 s29, s22
	s_wait_loadcnt 0x0
	v_and_b32_e32 v0, 0xffff, v0
	s_delay_alu instid0(VALU_DEP_1) | instskip(SKIP_1) | instid1(VALU_DEP_1)
	v_lshlrev_b64_e32 v[26:27], s2, v[0:1]
	s_add_nc_u64 s[2:3], s[2:3], 8
	v_or_b32_e32 v24, v26, v24
	s_delay_alu instid0(VALU_DEP_2)
	v_or_b32_e32 v25, v27, v25
	s_cbranch_scc1 .LBB4_847
.LBB4_848:                              ;   in Loop: Header=BB4_830 Depth=2
	s_wait_xcnt 0x0
	s_mov_b64 s[2:3], s[20:21]
	s_mov_b32 s28, 0
	s_cbranch_execz .LBB4_850
	s_branch .LBB4_851
.LBB4_849:                              ;   in Loop: Header=BB4_830 Depth=2
	s_wait_xcnt 0x0
	s_add_nc_u64 s[2:3], s[20:21], 8
	s_mov_b32 s28, 0
.LBB4_850:                              ;   in Loop: Header=BB4_830 Depth=2
	global_load_b64 v[24:25], v1, s[20:21]
	s_add_co_i32 s28, s29, -8
.LBB4_851:                              ;   in Loop: Header=BB4_830 Depth=2
	s_delay_alu instid0(SALU_CYCLE_1)
	s_cmp_gt_u32 s28, 7
	s_cbranch_scc1 .LBB4_856
; %bb.852:                              ;   in Loop: Header=BB4_830 Depth=2
	v_mov_b64_e32 v[26:27], 0
	s_cmp_eq_u32 s28, 0
	s_cbranch_scc1 .LBB4_855
; %bb.853:                              ;   in Loop: Header=BB4_830 Depth=2
	s_wait_xcnt 0x0
	s_mov_b64 s[20:21], 0
	s_mov_b64 s[22:23], 0
.LBB4_854:                              ;   Parent Loop BB4_3 Depth=1
                                        ;     Parent Loop BB4_830 Depth=2
                                        ; =>    This Inner Loop Header: Depth=3
	s_wait_xcnt 0x0
	s_add_nc_u64 s[30:31], s[2:3], s[22:23]
	s_add_nc_u64 s[22:23], s[22:23], 1
	global_load_u8 v0, v1, s[30:31]
	s_cmp_lg_u32 s28, s22
	s_wait_loadcnt 0x0
	v_and_b32_e32 v0, 0xffff, v0
	s_delay_alu instid0(VALU_DEP_1) | instskip(SKIP_1) | instid1(VALU_DEP_1)
	v_lshlrev_b64_e32 v[28:29], s20, v[0:1]
	s_add_nc_u64 s[20:21], s[20:21], 8
	v_or_b32_e32 v26, v28, v26
	s_delay_alu instid0(VALU_DEP_2)
	v_or_b32_e32 v27, v29, v27
	s_cbranch_scc1 .LBB4_854
.LBB4_855:                              ;   in Loop: Header=BB4_830 Depth=2
	s_wait_xcnt 0x0
	s_mov_b64 s[20:21], s[2:3]
	s_mov_b32 s29, 0
	s_cbranch_execz .LBB4_857
	s_branch .LBB4_858
.LBB4_856:                              ;   in Loop: Header=BB4_830 Depth=2
	s_wait_xcnt 0x0
	s_add_nc_u64 s[20:21], s[2:3], 8
                                        ; implicit-def: $vgpr26_vgpr27
	s_mov_b32 s29, 0
.LBB4_857:                              ;   in Loop: Header=BB4_830 Depth=2
	global_load_b64 v[26:27], v1, s[2:3]
	s_add_co_i32 s29, s28, -8
.LBB4_858:                              ;   in Loop: Header=BB4_830 Depth=2
	s_delay_alu instid0(SALU_CYCLE_1)
	s_cmp_gt_u32 s29, 7
	s_cbranch_scc1 .LBB4_863
; %bb.859:                              ;   in Loop: Header=BB4_830 Depth=2
	v_mov_b64_e32 v[28:29], 0
	s_cmp_eq_u32 s29, 0
	s_cbranch_scc1 .LBB4_862
; %bb.860:                              ;   in Loop: Header=BB4_830 Depth=2
	s_wait_xcnt 0x0
	s_mov_b64 s[2:3], 0
	s_mov_b64 s[22:23], 0
.LBB4_861:                              ;   Parent Loop BB4_3 Depth=1
                                        ;     Parent Loop BB4_830 Depth=2
                                        ; =>    This Inner Loop Header: Depth=3
	s_wait_xcnt 0x0
	s_add_nc_u64 s[30:31], s[20:21], s[22:23]
	s_add_nc_u64 s[22:23], s[22:23], 1
	global_load_u8 v0, v1, s[30:31]
	s_cmp_lg_u32 s29, s22
	s_wait_loadcnt 0x0
	v_and_b32_e32 v0, 0xffff, v0
	s_delay_alu instid0(VALU_DEP_1) | instskip(SKIP_1) | instid1(VALU_DEP_1)
	v_lshlrev_b64_e32 v[30:31], s2, v[0:1]
	s_add_nc_u64 s[2:3], s[2:3], 8
	v_or_b32_e32 v28, v30, v28
	s_delay_alu instid0(VALU_DEP_2)
	v_or_b32_e32 v29, v31, v29
	s_cbranch_scc1 .LBB4_861
.LBB4_862:                              ;   in Loop: Header=BB4_830 Depth=2
	s_wait_xcnt 0x0
	s_mov_b64 s[2:3], s[20:21]
	s_mov_b32 s28, 0
	s_cbranch_execz .LBB4_864
	s_branch .LBB4_865
.LBB4_863:                              ;   in Loop: Header=BB4_830 Depth=2
	s_wait_xcnt 0x0
	s_add_nc_u64 s[2:3], s[20:21], 8
	s_mov_b32 s28, 0
.LBB4_864:                              ;   in Loop: Header=BB4_830 Depth=2
	global_load_b64 v[28:29], v1, s[20:21]
	s_add_co_i32 s28, s29, -8
.LBB4_865:                              ;   in Loop: Header=BB4_830 Depth=2
	s_delay_alu instid0(SALU_CYCLE_1)
	s_cmp_gt_u32 s28, 7
	s_cbranch_scc1 .LBB4_870
; %bb.866:                              ;   in Loop: Header=BB4_830 Depth=2
	v_mov_b64_e32 v[30:31], 0
	s_cmp_eq_u32 s28, 0
	s_cbranch_scc1 .LBB4_869
; %bb.867:                              ;   in Loop: Header=BB4_830 Depth=2
	s_wait_xcnt 0x0
	s_mov_b64 s[20:21], 0
	s_mov_b64 s[22:23], 0
.LBB4_868:                              ;   Parent Loop BB4_3 Depth=1
                                        ;     Parent Loop BB4_830 Depth=2
                                        ; =>    This Inner Loop Header: Depth=3
	s_wait_xcnt 0x0
	s_add_nc_u64 s[30:31], s[2:3], s[22:23]
	s_add_nc_u64 s[22:23], s[22:23], 1
	global_load_u8 v0, v1, s[30:31]
	s_cmp_lg_u32 s28, s22
	s_wait_loadcnt 0x0
	v_and_b32_e32 v0, 0xffff, v0
	s_delay_alu instid0(VALU_DEP_1) | instskip(SKIP_1) | instid1(VALU_DEP_1)
	v_lshlrev_b64_e32 v[32:33], s20, v[0:1]
	s_add_nc_u64 s[20:21], s[20:21], 8
	v_or_b32_e32 v30, v32, v30
	s_delay_alu instid0(VALU_DEP_2)
	v_or_b32_e32 v31, v33, v31
	s_cbranch_scc1 .LBB4_868
.LBB4_869:                              ;   in Loop: Header=BB4_830 Depth=2
	s_wait_xcnt 0x0
	s_mov_b64 s[20:21], s[2:3]
	s_mov_b32 s29, 0
	s_cbranch_execz .LBB4_871
	s_branch .LBB4_872
.LBB4_870:                              ;   in Loop: Header=BB4_830 Depth=2
	s_wait_xcnt 0x0
	s_add_nc_u64 s[20:21], s[2:3], 8
                                        ; implicit-def: $vgpr30_vgpr31
	s_mov_b32 s29, 0
.LBB4_871:                              ;   in Loop: Header=BB4_830 Depth=2
	global_load_b64 v[30:31], v1, s[2:3]
	s_add_co_i32 s29, s28, -8
.LBB4_872:                              ;   in Loop: Header=BB4_830 Depth=2
	s_delay_alu instid0(SALU_CYCLE_1)
	s_cmp_gt_u32 s29, 7
	s_cbranch_scc1 .LBB4_877
; %bb.873:                              ;   in Loop: Header=BB4_830 Depth=2
	v_mov_b64_e32 v[32:33], 0
	s_cmp_eq_u32 s29, 0
	s_cbranch_scc1 .LBB4_876
; %bb.874:                              ;   in Loop: Header=BB4_830 Depth=2
	s_wait_xcnt 0x0
	s_mov_b64 s[2:3], 0
	s_mov_b64 s[22:23], s[20:21]
.LBB4_875:                              ;   Parent Loop BB4_3 Depth=1
                                        ;     Parent Loop BB4_830 Depth=2
                                        ; =>    This Inner Loop Header: Depth=3
	global_load_u8 v0, v1, s[22:23]
	s_add_co_i32 s29, s29, -1
	s_wait_xcnt 0x0
	s_add_nc_u64 s[22:23], s[22:23], 1
	s_cmp_lg_u32 s29, 0
	s_wait_loadcnt 0x0
	v_and_b32_e32 v0, 0xffff, v0
	s_delay_alu instid0(VALU_DEP_1) | instskip(SKIP_1) | instid1(VALU_DEP_1)
	v_lshlrev_b64_e32 v[34:35], s2, v[0:1]
	s_add_nc_u64 s[2:3], s[2:3], 8
	v_or_b32_e32 v32, v34, v32
	s_delay_alu instid0(VALU_DEP_2)
	v_or_b32_e32 v33, v35, v33
	s_cbranch_scc1 .LBB4_875
.LBB4_876:                              ;   in Loop: Header=BB4_830 Depth=2
	s_wait_xcnt 0x0
	s_cbranch_execz .LBB4_878
	s_branch .LBB4_879
.LBB4_877:                              ;   in Loop: Header=BB4_830 Depth=2
	s_wait_xcnt 0x0
.LBB4_878:                              ;   in Loop: Header=BB4_830 Depth=2
	global_load_b64 v[32:33], v1, s[20:21]
.LBB4_879:                              ;   in Loop: Header=BB4_830 Depth=2
	v_readfirstlane_b32 s2, v46
	v_mov_b64_e32 v[42:43], 0
	s_delay_alu instid0(VALU_DEP_2)
	v_cmp_eq_u32_e64 s2, s2, v46
	s_wait_xcnt 0x0
	s_and_saveexec_b32 s3, s2
	s_cbranch_execz .LBB4_885
; %bb.880:                              ;   in Loop: Header=BB4_830 Depth=2
	global_load_b64 v[36:37], v1, s[12:13] offset:24 scope:SCOPE_SYS
	s_wait_loadcnt 0x0
	global_inv scope:SCOPE_SYS
	s_clause 0x1
	global_load_b64 v[34:35], v1, s[12:13] offset:40
	global_load_b64 v[42:43], v1, s[12:13]
	s_mov_b32 s20, exec_lo
	s_wait_loadcnt 0x1
	v_and_b32_e32 v34, v34, v36
	v_and_b32_e32 v35, v35, v37
	s_delay_alu instid0(VALU_DEP_1) | instskip(SKIP_1) | instid1(VALU_DEP_1)
	v_mul_u64_e32 v[34:35], 24, v[34:35]
	s_wait_loadcnt 0x0
	v_add_nc_u64_e32 v[34:35], v[42:43], v[34:35]
	global_load_b64 v[34:35], v[34:35], off scope:SCOPE_SYS
	s_wait_xcnt 0x0
	s_wait_loadcnt 0x0
	global_atomic_cmpswap_b64 v[42:43], v1, v[34:37], s[12:13] offset:24 th:TH_ATOMIC_RETURN scope:SCOPE_SYS
	s_wait_loadcnt 0x0
	global_inv scope:SCOPE_SYS
	s_wait_xcnt 0x0
	v_cmpx_ne_u64_e64 v[42:43], v[36:37]
	s_cbranch_execz .LBB4_884
; %bb.881:                              ;   in Loop: Header=BB4_830 Depth=2
	s_mov_b32 s21, 0
.LBB4_882:                              ;   Parent Loop BB4_3 Depth=1
                                        ;     Parent Loop BB4_830 Depth=2
                                        ; =>    This Inner Loop Header: Depth=3
	s_sleep 1
	s_clause 0x1
	global_load_b64 v[34:35], v1, s[12:13] offset:40
	global_load_b64 v[44:45], v1, s[12:13]
	v_mov_b64_e32 v[36:37], v[42:43]
	s_wait_loadcnt 0x1
	s_delay_alu instid0(VALU_DEP_1) | instskip(SKIP_1) | instid1(VALU_DEP_1)
	v_and_b32_e32 v0, v34, v36
	s_wait_loadcnt 0x0
	v_mad_nc_u64_u32 v[42:43], v0, 24, v[44:45]
	s_delay_alu instid0(VALU_DEP_3) | instskip(NEXT) | instid1(VALU_DEP_1)
	v_and_b32_e32 v0, v35, v37
	v_mad_u32 v43, v0, 24, v43
	global_load_b64 v[34:35], v[42:43], off scope:SCOPE_SYS
	s_wait_xcnt 0x0
	s_wait_loadcnt 0x0
	global_atomic_cmpswap_b64 v[42:43], v1, v[34:37], s[12:13] offset:24 th:TH_ATOMIC_RETURN scope:SCOPE_SYS
	s_wait_loadcnt 0x0
	global_inv scope:SCOPE_SYS
	v_cmp_eq_u64_e32 vcc_lo, v[42:43], v[36:37]
	s_or_b32 s21, vcc_lo, s21
	s_wait_xcnt 0x0
	s_and_not1_b32 exec_lo, exec_lo, s21
	s_cbranch_execnz .LBB4_882
; %bb.883:                              ;   in Loop: Header=BB4_830 Depth=2
	s_or_b32 exec_lo, exec_lo, s21
.LBB4_884:                              ;   in Loop: Header=BB4_830 Depth=2
	s_delay_alu instid0(SALU_CYCLE_1)
	s_or_b32 exec_lo, exec_lo, s20
.LBB4_885:                              ;   in Loop: Header=BB4_830 Depth=2
	s_delay_alu instid0(SALU_CYCLE_1)
	s_or_b32 exec_lo, exec_lo, s3
	s_clause 0x1
	global_load_b64 v[44:45], v1, s[12:13] offset:40
	global_load_b128 v[34:37], v1, s[12:13]
	v_readfirstlane_b32 s20, v42
	v_readfirstlane_b32 s21, v43
	s_mov_b32 s3, exec_lo
	s_wait_loadcnt 0x1
	v_and_b32_e32 v44, s20, v44
	v_and_b32_e32 v45, s21, v45
	s_delay_alu instid0(VALU_DEP_1) | instskip(SKIP_1) | instid1(VALU_DEP_1)
	v_mul_u64_e32 v[42:43], 24, v[44:45]
	s_wait_loadcnt 0x0
	v_add_nc_u64_e32 v[42:43], v[34:35], v[42:43]
	s_wait_xcnt 0x0
	s_and_saveexec_b32 s22, s2
	s_cbranch_execz .LBB4_887
; %bb.886:                              ;   in Loop: Header=BB4_830 Depth=2
	v_mov_b32_e32 v0, s3
	global_store_b128 v[42:43], v[0:3], off offset:8
.LBB4_887:                              ;   in Loop: Header=BB4_830 Depth=2
	s_wait_xcnt 0x0
	s_or_b32 exec_lo, exec_lo, s22
	v_cmp_lt_u64_e64 vcc_lo, s[16:17], 57
	v_lshlrev_b64_e32 v[44:45], 12, v[44:45]
	v_and_b32_e32 v5, 0xffffff1f, v16
	s_lshl_b32 s3, s18, 2
	s_delay_alu instid0(SALU_CYCLE_1) | instskip(SKIP_1) | instid1(VALU_DEP_3)
	s_add_co_i32 s3, s3, 28
	v_cndmask_b32_e32 v0, 0, v6, vcc_lo
	v_add_nc_u64_e32 v[36:37], v[36:37], v[44:45]
	s_delay_alu instid0(VALU_DEP_2) | instskip(NEXT) | instid1(VALU_DEP_2)
	v_or_b32_e32 v0, v5, v0
	v_readfirstlane_b32 s22, v36
	s_delay_alu instid0(VALU_DEP_3) | instskip(NEXT) | instid1(VALU_DEP_3)
	v_readfirstlane_b32 s23, v37
	v_and_or_b32 v16, 0x1e0, s3, v0
	s_clause 0x3
	global_store_b128 v50, v[16:19], s[22:23]
	global_store_b128 v50, v[22:25], s[22:23] offset:16
	global_store_b128 v50, v[26:29], s[22:23] offset:32
	;; [unrolled: 1-line block ×3, first 2 shown]
	s_wait_xcnt 0x0
	s_and_saveexec_b32 s3, s2
	s_cbranch_execz .LBB4_895
; %bb.888:                              ;   in Loop: Header=BB4_830 Depth=2
	s_clause 0x1
	global_load_b64 v[26:27], v1, s[12:13] offset:32 scope:SCOPE_SYS
	global_load_b64 v[16:17], v1, s[12:13] offset:40
	s_mov_b32 s22, exec_lo
	v_dual_mov_b32 v24, s20 :: v_dual_mov_b32 v25, s21
	s_wait_loadcnt 0x0
	v_and_b32_e32 v17, s21, v17
	v_and_b32_e32 v16, s20, v16
	s_delay_alu instid0(VALU_DEP_1) | instskip(NEXT) | instid1(VALU_DEP_1)
	v_mul_u64_e32 v[16:17], 24, v[16:17]
	v_add_nc_u64_e32 v[22:23], v[34:35], v[16:17]
	global_store_b64 v[22:23], v[26:27], off
	global_wb scope:SCOPE_SYS
	s_wait_storecnt 0x0
	s_wait_xcnt 0x0
	global_atomic_cmpswap_b64 v[18:19], v1, v[24:27], s[12:13] offset:32 th:TH_ATOMIC_RETURN scope:SCOPE_SYS
	s_wait_loadcnt 0x0
	v_cmpx_ne_u64_e64 v[18:19], v[26:27]
	s_cbranch_execz .LBB4_891
; %bb.889:                              ;   in Loop: Header=BB4_830 Depth=2
	s_mov_b32 s23, 0
.LBB4_890:                              ;   Parent Loop BB4_3 Depth=1
                                        ;     Parent Loop BB4_830 Depth=2
                                        ; =>    This Inner Loop Header: Depth=3
	v_dual_mov_b32 v16, s20 :: v_dual_mov_b32 v17, s21
	s_sleep 1
	global_store_b64 v[22:23], v[18:19], off
	global_wb scope:SCOPE_SYS
	s_wait_storecnt 0x0
	s_wait_xcnt 0x0
	global_atomic_cmpswap_b64 v[16:17], v1, v[16:19], s[12:13] offset:32 th:TH_ATOMIC_RETURN scope:SCOPE_SYS
	s_wait_loadcnt 0x0
	v_cmp_eq_u64_e32 vcc_lo, v[16:17], v[18:19]
	v_mov_b64_e32 v[18:19], v[16:17]
	s_or_b32 s23, vcc_lo, s23
	s_delay_alu instid0(SALU_CYCLE_1)
	s_and_not1_b32 exec_lo, exec_lo, s23
	s_cbranch_execnz .LBB4_890
.LBB4_891:                              ;   in Loop: Header=BB4_830 Depth=2
	s_or_b32 exec_lo, exec_lo, s22
	global_load_b64 v[16:17], v1, s[12:13] offset:16
	s_mov_b32 s23, exec_lo
	s_mov_b32 s22, exec_lo
	v_mbcnt_lo_u32_b32 v0, s23, 0
	s_wait_xcnt 0x0
	s_delay_alu instid0(VALU_DEP_1)
	v_cmpx_eq_u32_e32 0, v0
	s_cbranch_execz .LBB4_893
; %bb.892:                              ;   in Loop: Header=BB4_830 Depth=2
	s_bcnt1_i32_b32 s23, s23
	s_delay_alu instid0(SALU_CYCLE_1)
	v_mov_b32_e32 v0, s23
	global_wb scope:SCOPE_SYS
	s_wait_loadcnt 0x0
	s_wait_storecnt 0x0
	global_atomic_add_u64 v[16:17], v[0:1], off offset:8 scope:SCOPE_SYS
.LBB4_893:                              ;   in Loop: Header=BB4_830 Depth=2
	s_wait_xcnt 0x0
	s_or_b32 exec_lo, exec_lo, s22
	s_wait_loadcnt 0x0
	global_load_b64 v[18:19], v[16:17], off offset:16
	s_wait_loadcnt 0x0
	v_cmp_eq_u64_e32 vcc_lo, 0, v[18:19]
	s_cbranch_vccnz .LBB4_895
; %bb.894:                              ;   in Loop: Header=BB4_830 Depth=2
	global_load_b32 v0, v[16:17], off offset:24
	s_wait_loadcnt 0x0
	v_readfirstlane_b32 s22, v0
	global_wb scope:SCOPE_SYS
	s_wait_storecnt 0x0
	s_wait_xcnt 0x0
	global_store_b64 v[18:19], v[0:1], off scope:SCOPE_SYS
	s_and_b32 m0, s22, 0xffffff
	s_sendmsg sendmsg(MSG_INTERRUPT)
.LBB4_895:                              ;   in Loop: Header=BB4_830 Depth=2
	s_wait_xcnt 0x0
	s_or_b32 exec_lo, exec_lo, s3
	v_mov_b32_e32 v51, v1
	s_delay_alu instid0(VALU_DEP_1)
	v_add_nc_u64_e32 v[16:17], v[36:37], v[50:51]
	s_branch .LBB4_899
.LBB4_896:                              ;   in Loop: Header=BB4_899 Depth=3
	s_wait_xcnt 0x0
	s_or_b32 exec_lo, exec_lo, s3
	s_delay_alu instid0(VALU_DEP_1)
	v_readfirstlane_b32 s3, v0
	s_cmp_eq_u32 s3, 0
	s_cbranch_scc1 .LBB4_898
; %bb.897:                              ;   in Loop: Header=BB4_899 Depth=3
	s_sleep 1
	s_cbranch_execnz .LBB4_899
	s_branch .LBB4_901
.LBB4_898:                              ;   in Loop: Header=BB4_830 Depth=2
	s_branch .LBB4_901
.LBB4_899:                              ;   Parent Loop BB4_3 Depth=1
                                        ;     Parent Loop BB4_830 Depth=2
                                        ; =>    This Inner Loop Header: Depth=3
	v_mov_b32_e32 v0, 1
	s_and_saveexec_b32 s3, s2
	s_cbranch_execz .LBB4_896
; %bb.900:                              ;   in Loop: Header=BB4_899 Depth=3
	global_load_b32 v0, v[42:43], off offset:20 scope:SCOPE_SYS
	s_wait_loadcnt 0x0
	global_inv scope:SCOPE_SYS
	v_and_b32_e32 v0, 1, v0
	s_branch .LBB4_896
.LBB4_901:                              ;   in Loop: Header=BB4_830 Depth=2
	global_load_b64 v[16:17], v[16:17], off
	s_wait_xcnt 0x0
	s_and_saveexec_b32 s22, s2
	s_cbranch_execz .LBB4_829
; %bb.902:                              ;   in Loop: Header=BB4_830 Depth=2
	s_clause 0x2
	global_load_b64 v[18:19], v1, s[12:13] offset:40
	global_load_b64 v[26:27], v1, s[12:13] offset:24 scope:SCOPE_SYS
	global_load_b64 v[22:23], v1, s[12:13]
	s_wait_loadcnt 0x2
	v_readfirstlane_b32 s28, v18
	v_readfirstlane_b32 s29, v19
	s_add_nc_u64 s[2:3], s[28:29], 1
	s_delay_alu instid0(SALU_CYCLE_1) | instskip(NEXT) | instid1(SALU_CYCLE_1)
	s_add_nc_u64 s[20:21], s[2:3], s[20:21]
	s_cmp_eq_u64 s[20:21], 0
	s_cselect_b32 s3, s3, s21
	s_cselect_b32 s2, s2, s20
	s_delay_alu instid0(SALU_CYCLE_1) | instskip(SKIP_1) | instid1(SALU_CYCLE_1)
	v_dual_mov_b32 v25, s3 :: v_dual_mov_b32 v24, s2
	s_and_b64 s[20:21], s[2:3], s[28:29]
	s_mul_u64 s[20:21], s[20:21], 24
	s_wait_loadcnt 0x0
	v_add_nc_u64_e32 v[18:19], s[20:21], v[22:23]
	global_store_b64 v[18:19], v[26:27], off
	global_wb scope:SCOPE_SYS
	s_wait_storecnt 0x0
	s_wait_xcnt 0x0
	global_atomic_cmpswap_b64 v[24:25], v1, v[24:27], s[12:13] offset:24 th:TH_ATOMIC_RETURN scope:SCOPE_SYS
	s_wait_loadcnt 0x0
	v_cmp_ne_u64_e32 vcc_lo, v[24:25], v[26:27]
	s_and_b32 exec_lo, exec_lo, vcc_lo
	s_cbranch_execz .LBB4_829
; %bb.903:                              ;   in Loop: Header=BB4_830 Depth=2
	s_mov_b32 s20, 0
.LBB4_904:                              ;   Parent Loop BB4_3 Depth=1
                                        ;     Parent Loop BB4_830 Depth=2
                                        ; =>    This Inner Loop Header: Depth=3
	v_dual_mov_b32 v22, s2 :: v_dual_mov_b32 v23, s3
	s_sleep 1
	global_store_b64 v[18:19], v[24:25], off
	global_wb scope:SCOPE_SYS
	s_wait_storecnt 0x0
	s_wait_xcnt 0x0
	global_atomic_cmpswap_b64 v[22:23], v1, v[22:25], s[12:13] offset:24 th:TH_ATOMIC_RETURN scope:SCOPE_SYS
	s_wait_loadcnt 0x0
	v_cmp_eq_u64_e32 vcc_lo, v[22:23], v[24:25]
	v_mov_b64_e32 v[24:25], v[22:23]
	s_or_b32 s20, vcc_lo, s20
	s_delay_alu instid0(SALU_CYCLE_1)
	s_and_not1_b32 exec_lo, exec_lo, s20
	s_cbranch_execnz .LBB4_904
	s_branch .LBB4_829
.LBB4_905:                              ;   in Loop: Header=BB4_3 Depth=1
.LBB4_906:                              ;   in Loop: Header=BB4_3 Depth=1
	s_and_b32 vcc_lo, exec_lo, s26
	s_cbranch_vccz .LBB4_1013
.LBB4_907:                              ;   in Loop: Header=BB4_3 Depth=1
	s_wait_loadcnt 0x0
	v_dual_mov_b32 v19, v17 :: v_dual_bitop2_b32 v6, 2, v16 bitop3:0x40
	v_and_b32_e32 v18, -3, v16
	s_mov_b64 s[14:15], 45
	s_mov_b64 s[16:17], s[10:11]
	s_branch .LBB4_909
.LBB4_908:                              ;   in Loop: Header=BB4_909 Depth=2
	s_or_b32 exec_lo, exec_lo, s22
	s_sub_nc_u64 s[14:15], s[14:15], s[18:19]
	s_add_nc_u64 s[16:17], s[16:17], s[18:19]
	s_cmp_lg_u64 s[14:15], 0
	s_cbranch_scc0 .LBB4_984
.LBB4_909:                              ;   Parent Loop BB4_3 Depth=1
                                        ; =>  This Loop Header: Depth=2
                                        ;       Child Loop BB4_912 Depth 3
                                        ;       Child Loop BB4_919 Depth 3
	;; [unrolled: 1-line block ×11, first 2 shown]
	v_min_u64 v[20:21], s[14:15], 56
	v_cmp_gt_u64_e64 s2, s[14:15], 7
	s_and_b32 vcc_lo, exec_lo, s2
	v_readfirstlane_b32 s18, v20
	v_readfirstlane_b32 s19, v21
	s_cbranch_vccnz .LBB4_914
; %bb.910:                              ;   in Loop: Header=BB4_909 Depth=2
	v_mov_b64_e32 v[20:21], 0
	s_cmp_eq_u64 s[14:15], 0
	s_cbranch_scc1 .LBB4_913
; %bb.911:                              ;   in Loop: Header=BB4_909 Depth=2
	s_mov_b64 s[2:3], 0
	s_mov_b64 s[20:21], 0
.LBB4_912:                              ;   Parent Loop BB4_3 Depth=1
                                        ;     Parent Loop BB4_909 Depth=2
                                        ; =>    This Inner Loop Header: Depth=3
	s_wait_xcnt 0x0
	s_add_nc_u64 s[22:23], s[16:17], s[20:21]
	s_add_nc_u64 s[20:21], s[20:21], 1
	global_load_u8 v0, v1, s[22:23]
	s_cmp_lg_u32 s18, s20
	s_wait_loadcnt 0x0
	v_and_b32_e32 v0, 0xffff, v0
	s_delay_alu instid0(VALU_DEP_1) | instskip(SKIP_1) | instid1(VALU_DEP_1)
	v_lshlrev_b64_e32 v[22:23], s2, v[0:1]
	s_add_nc_u64 s[2:3], s[2:3], 8
	v_or_b32_e32 v20, v22, v20
	s_delay_alu instid0(VALU_DEP_2)
	v_or_b32_e32 v21, v23, v21
	s_cbranch_scc1 .LBB4_912
.LBB4_913:                              ;   in Loop: Header=BB4_909 Depth=2
	s_mov_b64 s[2:3], s[16:17]
	s_mov_b32 s28, 0
	s_cbranch_execz .LBB4_915
	s_branch .LBB4_916
.LBB4_914:                              ;   in Loop: Header=BB4_909 Depth=2
	s_add_nc_u64 s[2:3], s[16:17], 8
	s_mov_b32 s28, 0
.LBB4_915:                              ;   in Loop: Header=BB4_909 Depth=2
	global_load_b64 v[20:21], v1, s[16:17]
	s_add_co_i32 s28, s18, -8
.LBB4_916:                              ;   in Loop: Header=BB4_909 Depth=2
	s_delay_alu instid0(SALU_CYCLE_1)
	s_cmp_gt_u32 s28, 7
	s_cbranch_scc1 .LBB4_921
; %bb.917:                              ;   in Loop: Header=BB4_909 Depth=2
	v_mov_b64_e32 v[22:23], 0
	s_cmp_eq_u32 s28, 0
	s_cbranch_scc1 .LBB4_920
; %bb.918:                              ;   in Loop: Header=BB4_909 Depth=2
	s_mov_b64 s[20:21], 0
	s_wait_xcnt 0x0
	s_mov_b64 s[22:23], 0
.LBB4_919:                              ;   Parent Loop BB4_3 Depth=1
                                        ;     Parent Loop BB4_909 Depth=2
                                        ; =>    This Inner Loop Header: Depth=3
	s_wait_xcnt 0x0
	s_add_nc_u64 s[30:31], s[2:3], s[22:23]
	s_add_nc_u64 s[22:23], s[22:23], 1
	global_load_u8 v0, v1, s[30:31]
	s_cmp_lg_u32 s28, s22
	s_wait_loadcnt 0x0
	v_and_b32_e32 v0, 0xffff, v0
	s_delay_alu instid0(VALU_DEP_1) | instskip(SKIP_1) | instid1(VALU_DEP_1)
	v_lshlrev_b64_e32 v[24:25], s20, v[0:1]
	s_add_nc_u64 s[20:21], s[20:21], 8
	v_or_b32_e32 v22, v24, v22
	s_delay_alu instid0(VALU_DEP_2)
	v_or_b32_e32 v23, v25, v23
	s_cbranch_scc1 .LBB4_919
.LBB4_920:                              ;   in Loop: Header=BB4_909 Depth=2
	s_wait_xcnt 0x0
	s_mov_b64 s[20:21], s[2:3]
	s_mov_b32 s29, 0
	s_cbranch_execz .LBB4_922
	s_branch .LBB4_923
.LBB4_921:                              ;   in Loop: Header=BB4_909 Depth=2
	s_add_nc_u64 s[20:21], s[2:3], 8
	s_wait_xcnt 0x0
                                        ; implicit-def: $vgpr22_vgpr23
	s_mov_b32 s29, 0
.LBB4_922:                              ;   in Loop: Header=BB4_909 Depth=2
	global_load_b64 v[22:23], v1, s[2:3]
	s_add_co_i32 s29, s28, -8
.LBB4_923:                              ;   in Loop: Header=BB4_909 Depth=2
	s_delay_alu instid0(SALU_CYCLE_1)
	s_cmp_gt_u32 s29, 7
	s_cbranch_scc1 .LBB4_928
; %bb.924:                              ;   in Loop: Header=BB4_909 Depth=2
	v_mov_b64_e32 v[24:25], 0
	s_cmp_eq_u32 s29, 0
	s_cbranch_scc1 .LBB4_927
; %bb.925:                              ;   in Loop: Header=BB4_909 Depth=2
	s_wait_xcnt 0x0
	s_mov_b64 s[2:3], 0
	s_mov_b64 s[22:23], 0
.LBB4_926:                              ;   Parent Loop BB4_3 Depth=1
                                        ;     Parent Loop BB4_909 Depth=2
                                        ; =>    This Inner Loop Header: Depth=3
	s_wait_xcnt 0x0
	s_add_nc_u64 s[30:31], s[20:21], s[22:23]
	s_add_nc_u64 s[22:23], s[22:23], 1
	global_load_u8 v0, v1, s[30:31]
	s_cmp_lg_u32 s29, s22
	s_wait_loadcnt 0x0
	v_and_b32_e32 v0, 0xffff, v0
	s_delay_alu instid0(VALU_DEP_1) | instskip(SKIP_1) | instid1(VALU_DEP_1)
	v_lshlrev_b64_e32 v[26:27], s2, v[0:1]
	s_add_nc_u64 s[2:3], s[2:3], 8
	v_or_b32_e32 v24, v26, v24
	s_delay_alu instid0(VALU_DEP_2)
	v_or_b32_e32 v25, v27, v25
	s_cbranch_scc1 .LBB4_926
.LBB4_927:                              ;   in Loop: Header=BB4_909 Depth=2
	s_wait_xcnt 0x0
	s_mov_b64 s[2:3], s[20:21]
	s_mov_b32 s28, 0
	s_cbranch_execz .LBB4_929
	s_branch .LBB4_930
.LBB4_928:                              ;   in Loop: Header=BB4_909 Depth=2
	s_wait_xcnt 0x0
	s_add_nc_u64 s[2:3], s[20:21], 8
	s_mov_b32 s28, 0
.LBB4_929:                              ;   in Loop: Header=BB4_909 Depth=2
	global_load_b64 v[24:25], v1, s[20:21]
	s_add_co_i32 s28, s29, -8
.LBB4_930:                              ;   in Loop: Header=BB4_909 Depth=2
	s_delay_alu instid0(SALU_CYCLE_1)
	s_cmp_gt_u32 s28, 7
	s_cbranch_scc1 .LBB4_935
; %bb.931:                              ;   in Loop: Header=BB4_909 Depth=2
	v_mov_b64_e32 v[26:27], 0
	s_cmp_eq_u32 s28, 0
	s_cbranch_scc1 .LBB4_934
; %bb.932:                              ;   in Loop: Header=BB4_909 Depth=2
	s_wait_xcnt 0x0
	s_mov_b64 s[20:21], 0
	s_mov_b64 s[22:23], 0
.LBB4_933:                              ;   Parent Loop BB4_3 Depth=1
                                        ;     Parent Loop BB4_909 Depth=2
                                        ; =>    This Inner Loop Header: Depth=3
	s_wait_xcnt 0x0
	s_add_nc_u64 s[30:31], s[2:3], s[22:23]
	s_add_nc_u64 s[22:23], s[22:23], 1
	global_load_u8 v0, v1, s[30:31]
	s_cmp_lg_u32 s28, s22
	s_wait_loadcnt 0x0
	v_and_b32_e32 v0, 0xffff, v0
	s_delay_alu instid0(VALU_DEP_1) | instskip(SKIP_1) | instid1(VALU_DEP_1)
	v_lshlrev_b64_e32 v[28:29], s20, v[0:1]
	s_add_nc_u64 s[20:21], s[20:21], 8
	v_or_b32_e32 v26, v28, v26
	s_delay_alu instid0(VALU_DEP_2)
	v_or_b32_e32 v27, v29, v27
	s_cbranch_scc1 .LBB4_933
.LBB4_934:                              ;   in Loop: Header=BB4_909 Depth=2
	s_wait_xcnt 0x0
	s_mov_b64 s[20:21], s[2:3]
	s_mov_b32 s29, 0
	s_cbranch_execz .LBB4_936
	s_branch .LBB4_937
.LBB4_935:                              ;   in Loop: Header=BB4_909 Depth=2
	s_wait_xcnt 0x0
	s_add_nc_u64 s[20:21], s[2:3], 8
                                        ; implicit-def: $vgpr26_vgpr27
	s_mov_b32 s29, 0
.LBB4_936:                              ;   in Loop: Header=BB4_909 Depth=2
	global_load_b64 v[26:27], v1, s[2:3]
	s_add_co_i32 s29, s28, -8
.LBB4_937:                              ;   in Loop: Header=BB4_909 Depth=2
	s_delay_alu instid0(SALU_CYCLE_1)
	s_cmp_gt_u32 s29, 7
	s_cbranch_scc1 .LBB4_942
; %bb.938:                              ;   in Loop: Header=BB4_909 Depth=2
	v_mov_b64_e32 v[28:29], 0
	s_cmp_eq_u32 s29, 0
	s_cbranch_scc1 .LBB4_941
; %bb.939:                              ;   in Loop: Header=BB4_909 Depth=2
	s_wait_xcnt 0x0
	s_mov_b64 s[2:3], 0
	s_mov_b64 s[22:23], 0
.LBB4_940:                              ;   Parent Loop BB4_3 Depth=1
                                        ;     Parent Loop BB4_909 Depth=2
                                        ; =>    This Inner Loop Header: Depth=3
	s_wait_xcnt 0x0
	s_add_nc_u64 s[30:31], s[20:21], s[22:23]
	s_add_nc_u64 s[22:23], s[22:23], 1
	global_load_u8 v0, v1, s[30:31]
	s_cmp_lg_u32 s29, s22
	s_wait_loadcnt 0x0
	v_and_b32_e32 v0, 0xffff, v0
	s_delay_alu instid0(VALU_DEP_1) | instskip(SKIP_1) | instid1(VALU_DEP_1)
	v_lshlrev_b64_e32 v[30:31], s2, v[0:1]
	s_add_nc_u64 s[2:3], s[2:3], 8
	v_or_b32_e32 v28, v30, v28
	s_delay_alu instid0(VALU_DEP_2)
	v_or_b32_e32 v29, v31, v29
	s_cbranch_scc1 .LBB4_940
.LBB4_941:                              ;   in Loop: Header=BB4_909 Depth=2
	s_wait_xcnt 0x0
	s_mov_b64 s[2:3], s[20:21]
	s_mov_b32 s28, 0
	s_cbranch_execz .LBB4_943
	s_branch .LBB4_944
.LBB4_942:                              ;   in Loop: Header=BB4_909 Depth=2
	s_wait_xcnt 0x0
	s_add_nc_u64 s[2:3], s[20:21], 8
	s_mov_b32 s28, 0
.LBB4_943:                              ;   in Loop: Header=BB4_909 Depth=2
	global_load_b64 v[28:29], v1, s[20:21]
	s_add_co_i32 s28, s29, -8
.LBB4_944:                              ;   in Loop: Header=BB4_909 Depth=2
	s_delay_alu instid0(SALU_CYCLE_1)
	s_cmp_gt_u32 s28, 7
	s_cbranch_scc1 .LBB4_949
; %bb.945:                              ;   in Loop: Header=BB4_909 Depth=2
	v_mov_b64_e32 v[30:31], 0
	s_cmp_eq_u32 s28, 0
	s_cbranch_scc1 .LBB4_948
; %bb.946:                              ;   in Loop: Header=BB4_909 Depth=2
	s_wait_xcnt 0x0
	s_mov_b64 s[20:21], 0
	s_mov_b64 s[22:23], 0
.LBB4_947:                              ;   Parent Loop BB4_3 Depth=1
                                        ;     Parent Loop BB4_909 Depth=2
                                        ; =>    This Inner Loop Header: Depth=3
	s_wait_xcnt 0x0
	s_add_nc_u64 s[30:31], s[2:3], s[22:23]
	s_add_nc_u64 s[22:23], s[22:23], 1
	global_load_u8 v0, v1, s[30:31]
	s_cmp_lg_u32 s28, s22
	s_wait_loadcnt 0x0
	v_and_b32_e32 v0, 0xffff, v0
	s_delay_alu instid0(VALU_DEP_1) | instskip(SKIP_1) | instid1(VALU_DEP_1)
	v_lshlrev_b64_e32 v[32:33], s20, v[0:1]
	s_add_nc_u64 s[20:21], s[20:21], 8
	v_or_b32_e32 v30, v32, v30
	s_delay_alu instid0(VALU_DEP_2)
	v_or_b32_e32 v31, v33, v31
	s_cbranch_scc1 .LBB4_947
.LBB4_948:                              ;   in Loop: Header=BB4_909 Depth=2
	s_wait_xcnt 0x0
	s_mov_b64 s[20:21], s[2:3]
	s_mov_b32 s29, 0
	s_cbranch_execz .LBB4_950
	s_branch .LBB4_951
.LBB4_949:                              ;   in Loop: Header=BB4_909 Depth=2
	s_wait_xcnt 0x0
	s_add_nc_u64 s[20:21], s[2:3], 8
                                        ; implicit-def: $vgpr30_vgpr31
	s_mov_b32 s29, 0
.LBB4_950:                              ;   in Loop: Header=BB4_909 Depth=2
	global_load_b64 v[30:31], v1, s[2:3]
	s_add_co_i32 s29, s28, -8
.LBB4_951:                              ;   in Loop: Header=BB4_909 Depth=2
	s_delay_alu instid0(SALU_CYCLE_1)
	s_cmp_gt_u32 s29, 7
	s_cbranch_scc1 .LBB4_956
; %bb.952:                              ;   in Loop: Header=BB4_909 Depth=2
	v_mov_b64_e32 v[32:33], 0
	s_cmp_eq_u32 s29, 0
	s_cbranch_scc1 .LBB4_955
; %bb.953:                              ;   in Loop: Header=BB4_909 Depth=2
	s_wait_xcnt 0x0
	s_mov_b64 s[2:3], 0
	s_mov_b64 s[22:23], s[20:21]
.LBB4_954:                              ;   Parent Loop BB4_3 Depth=1
                                        ;     Parent Loop BB4_909 Depth=2
                                        ; =>    This Inner Loop Header: Depth=3
	global_load_u8 v0, v1, s[22:23]
	s_add_co_i32 s29, s29, -1
	s_wait_xcnt 0x0
	s_add_nc_u64 s[22:23], s[22:23], 1
	s_cmp_lg_u32 s29, 0
	s_wait_loadcnt 0x0
	v_and_b32_e32 v0, 0xffff, v0
	s_delay_alu instid0(VALU_DEP_1) | instskip(SKIP_1) | instid1(VALU_DEP_1)
	v_lshlrev_b64_e32 v[34:35], s2, v[0:1]
	s_add_nc_u64 s[2:3], s[2:3], 8
	v_or_b32_e32 v32, v34, v32
	s_delay_alu instid0(VALU_DEP_2)
	v_or_b32_e32 v33, v35, v33
	s_cbranch_scc1 .LBB4_954
.LBB4_955:                              ;   in Loop: Header=BB4_909 Depth=2
	s_wait_xcnt 0x0
	s_cbranch_execz .LBB4_957
	s_branch .LBB4_958
.LBB4_956:                              ;   in Loop: Header=BB4_909 Depth=2
	s_wait_xcnt 0x0
.LBB4_957:                              ;   in Loop: Header=BB4_909 Depth=2
	global_load_b64 v[32:33], v1, s[20:21]
.LBB4_958:                              ;   in Loop: Header=BB4_909 Depth=2
	v_readfirstlane_b32 s2, v46
	v_mov_b64_e32 v[42:43], 0
	s_delay_alu instid0(VALU_DEP_2)
	v_cmp_eq_u32_e64 s2, s2, v46
	s_wait_xcnt 0x0
	s_and_saveexec_b32 s3, s2
	s_cbranch_execz .LBB4_964
; %bb.959:                              ;   in Loop: Header=BB4_909 Depth=2
	global_load_b64 v[36:37], v1, s[12:13] offset:24 scope:SCOPE_SYS
	s_wait_loadcnt 0x0
	global_inv scope:SCOPE_SYS
	s_clause 0x1
	global_load_b64 v[34:35], v1, s[12:13] offset:40
	global_load_b64 v[42:43], v1, s[12:13]
	s_mov_b32 s20, exec_lo
	s_wait_loadcnt 0x1
	v_and_b32_e32 v34, v34, v36
	v_and_b32_e32 v35, v35, v37
	s_delay_alu instid0(VALU_DEP_1) | instskip(SKIP_1) | instid1(VALU_DEP_1)
	v_mul_u64_e32 v[34:35], 24, v[34:35]
	s_wait_loadcnt 0x0
	v_add_nc_u64_e32 v[34:35], v[42:43], v[34:35]
	global_load_b64 v[34:35], v[34:35], off scope:SCOPE_SYS
	s_wait_xcnt 0x0
	s_wait_loadcnt 0x0
	global_atomic_cmpswap_b64 v[42:43], v1, v[34:37], s[12:13] offset:24 th:TH_ATOMIC_RETURN scope:SCOPE_SYS
	s_wait_loadcnt 0x0
	global_inv scope:SCOPE_SYS
	s_wait_xcnt 0x0
	v_cmpx_ne_u64_e64 v[42:43], v[36:37]
	s_cbranch_execz .LBB4_963
; %bb.960:                              ;   in Loop: Header=BB4_909 Depth=2
	s_mov_b32 s21, 0
.LBB4_961:                              ;   Parent Loop BB4_3 Depth=1
                                        ;     Parent Loop BB4_909 Depth=2
                                        ; =>    This Inner Loop Header: Depth=3
	s_sleep 1
	s_clause 0x1
	global_load_b64 v[34:35], v1, s[12:13] offset:40
	global_load_b64 v[44:45], v1, s[12:13]
	v_mov_b64_e32 v[36:37], v[42:43]
	s_wait_loadcnt 0x1
	s_delay_alu instid0(VALU_DEP_1) | instskip(SKIP_1) | instid1(VALU_DEP_1)
	v_and_b32_e32 v0, v34, v36
	s_wait_loadcnt 0x0
	v_mad_nc_u64_u32 v[42:43], v0, 24, v[44:45]
	s_delay_alu instid0(VALU_DEP_3) | instskip(NEXT) | instid1(VALU_DEP_1)
	v_and_b32_e32 v0, v35, v37
	v_mad_u32 v43, v0, 24, v43
	global_load_b64 v[34:35], v[42:43], off scope:SCOPE_SYS
	s_wait_xcnt 0x0
	s_wait_loadcnt 0x0
	global_atomic_cmpswap_b64 v[42:43], v1, v[34:37], s[12:13] offset:24 th:TH_ATOMIC_RETURN scope:SCOPE_SYS
	s_wait_loadcnt 0x0
	global_inv scope:SCOPE_SYS
	v_cmp_eq_u64_e32 vcc_lo, v[42:43], v[36:37]
	s_or_b32 s21, vcc_lo, s21
	s_wait_xcnt 0x0
	s_and_not1_b32 exec_lo, exec_lo, s21
	s_cbranch_execnz .LBB4_961
; %bb.962:                              ;   in Loop: Header=BB4_909 Depth=2
	s_or_b32 exec_lo, exec_lo, s21
.LBB4_963:                              ;   in Loop: Header=BB4_909 Depth=2
	s_delay_alu instid0(SALU_CYCLE_1)
	s_or_b32 exec_lo, exec_lo, s20
.LBB4_964:                              ;   in Loop: Header=BB4_909 Depth=2
	s_delay_alu instid0(SALU_CYCLE_1)
	s_or_b32 exec_lo, exec_lo, s3
	s_clause 0x1
	global_load_b64 v[44:45], v1, s[12:13] offset:40
	global_load_b128 v[34:37], v1, s[12:13]
	v_readfirstlane_b32 s20, v42
	v_readfirstlane_b32 s21, v43
	s_mov_b32 s3, exec_lo
	s_wait_loadcnt 0x1
	v_and_b32_e32 v44, s20, v44
	v_and_b32_e32 v45, s21, v45
	s_delay_alu instid0(VALU_DEP_1) | instskip(SKIP_1) | instid1(VALU_DEP_1)
	v_mul_u64_e32 v[42:43], 24, v[44:45]
	s_wait_loadcnt 0x0
	v_add_nc_u64_e32 v[42:43], v[34:35], v[42:43]
	s_wait_xcnt 0x0
	s_and_saveexec_b32 s22, s2
	s_cbranch_execz .LBB4_966
; %bb.965:                              ;   in Loop: Header=BB4_909 Depth=2
	v_mov_b32_e32 v0, s3
	global_store_b128 v[42:43], v[0:3], off offset:8
.LBB4_966:                              ;   in Loop: Header=BB4_909 Depth=2
	s_wait_xcnt 0x0
	s_or_b32 exec_lo, exec_lo, s22
	v_cmp_lt_u64_e64 vcc_lo, s[14:15], 57
	v_lshlrev_b64_e32 v[44:45], 12, v[44:45]
	v_and_b32_e32 v5, 0xffffff1f, v18
	s_lshl_b32 s3, s18, 2
	s_delay_alu instid0(SALU_CYCLE_1) | instskip(SKIP_1) | instid1(VALU_DEP_3)
	s_add_co_i32 s3, s3, 28
	v_cndmask_b32_e32 v0, 0, v6, vcc_lo
	v_add_nc_u64_e32 v[36:37], v[36:37], v[44:45]
	s_delay_alu instid0(VALU_DEP_2) | instskip(NEXT) | instid1(VALU_DEP_2)
	v_or_b32_e32 v0, v5, v0
	v_readfirstlane_b32 s22, v36
	s_delay_alu instid0(VALU_DEP_3) | instskip(NEXT) | instid1(VALU_DEP_3)
	v_readfirstlane_b32 s23, v37
	v_and_or_b32 v18, 0x1e0, s3, v0
	s_clause 0x3
	global_store_b128 v50, v[18:21], s[22:23]
	global_store_b128 v50, v[22:25], s[22:23] offset:16
	global_store_b128 v50, v[26:29], s[22:23] offset:32
	global_store_b128 v50, v[30:33], s[22:23] offset:48
	s_wait_xcnt 0x0
	s_and_saveexec_b32 s3, s2
	s_cbranch_execz .LBB4_974
; %bb.967:                              ;   in Loop: Header=BB4_909 Depth=2
	s_clause 0x1
	global_load_b64 v[26:27], v1, s[12:13] offset:32 scope:SCOPE_SYS
	global_load_b64 v[18:19], v1, s[12:13] offset:40
	s_mov_b32 s22, exec_lo
	v_dual_mov_b32 v24, s20 :: v_dual_mov_b32 v25, s21
	s_wait_loadcnt 0x0
	v_and_b32_e32 v19, s21, v19
	v_and_b32_e32 v18, s20, v18
	s_delay_alu instid0(VALU_DEP_1) | instskip(NEXT) | instid1(VALU_DEP_1)
	v_mul_u64_e32 v[18:19], 24, v[18:19]
	v_add_nc_u64_e32 v[22:23], v[34:35], v[18:19]
	global_store_b64 v[22:23], v[26:27], off
	global_wb scope:SCOPE_SYS
	s_wait_storecnt 0x0
	s_wait_xcnt 0x0
	global_atomic_cmpswap_b64 v[20:21], v1, v[24:27], s[12:13] offset:32 th:TH_ATOMIC_RETURN scope:SCOPE_SYS
	s_wait_loadcnt 0x0
	v_cmpx_ne_u64_e64 v[20:21], v[26:27]
	s_cbranch_execz .LBB4_970
; %bb.968:                              ;   in Loop: Header=BB4_909 Depth=2
	s_mov_b32 s23, 0
.LBB4_969:                              ;   Parent Loop BB4_3 Depth=1
                                        ;     Parent Loop BB4_909 Depth=2
                                        ; =>    This Inner Loop Header: Depth=3
	v_dual_mov_b32 v18, s20 :: v_dual_mov_b32 v19, s21
	s_sleep 1
	global_store_b64 v[22:23], v[20:21], off
	global_wb scope:SCOPE_SYS
	s_wait_storecnt 0x0
	s_wait_xcnt 0x0
	global_atomic_cmpswap_b64 v[18:19], v1, v[18:21], s[12:13] offset:32 th:TH_ATOMIC_RETURN scope:SCOPE_SYS
	s_wait_loadcnt 0x0
	v_cmp_eq_u64_e32 vcc_lo, v[18:19], v[20:21]
	v_mov_b64_e32 v[20:21], v[18:19]
	s_or_b32 s23, vcc_lo, s23
	s_delay_alu instid0(SALU_CYCLE_1)
	s_and_not1_b32 exec_lo, exec_lo, s23
	s_cbranch_execnz .LBB4_969
.LBB4_970:                              ;   in Loop: Header=BB4_909 Depth=2
	s_or_b32 exec_lo, exec_lo, s22
	global_load_b64 v[18:19], v1, s[12:13] offset:16
	s_mov_b32 s23, exec_lo
	s_mov_b32 s22, exec_lo
	v_mbcnt_lo_u32_b32 v0, s23, 0
	s_wait_xcnt 0x0
	s_delay_alu instid0(VALU_DEP_1)
	v_cmpx_eq_u32_e32 0, v0
	s_cbranch_execz .LBB4_972
; %bb.971:                              ;   in Loop: Header=BB4_909 Depth=2
	s_bcnt1_i32_b32 s23, s23
	s_delay_alu instid0(SALU_CYCLE_1)
	v_mov_b32_e32 v0, s23
	global_wb scope:SCOPE_SYS
	s_wait_loadcnt 0x0
	s_wait_storecnt 0x0
	global_atomic_add_u64 v[18:19], v[0:1], off offset:8 scope:SCOPE_SYS
.LBB4_972:                              ;   in Loop: Header=BB4_909 Depth=2
	s_wait_xcnt 0x0
	s_or_b32 exec_lo, exec_lo, s22
	s_wait_loadcnt 0x0
	global_load_b64 v[20:21], v[18:19], off offset:16
	s_wait_loadcnt 0x0
	v_cmp_eq_u64_e32 vcc_lo, 0, v[20:21]
	s_cbranch_vccnz .LBB4_974
; %bb.973:                              ;   in Loop: Header=BB4_909 Depth=2
	global_load_b32 v0, v[18:19], off offset:24
	s_wait_loadcnt 0x0
	v_readfirstlane_b32 s22, v0
	global_wb scope:SCOPE_SYS
	s_wait_storecnt 0x0
	s_wait_xcnt 0x0
	global_store_b64 v[20:21], v[0:1], off scope:SCOPE_SYS
	s_and_b32 m0, s22, 0xffffff
	s_sendmsg sendmsg(MSG_INTERRUPT)
.LBB4_974:                              ;   in Loop: Header=BB4_909 Depth=2
	s_wait_xcnt 0x0
	s_or_b32 exec_lo, exec_lo, s3
	v_mov_b32_e32 v51, v1
	s_delay_alu instid0(VALU_DEP_1)
	v_add_nc_u64_e32 v[18:19], v[36:37], v[50:51]
	s_branch .LBB4_978
.LBB4_975:                              ;   in Loop: Header=BB4_978 Depth=3
	s_wait_xcnt 0x0
	s_or_b32 exec_lo, exec_lo, s3
	s_delay_alu instid0(VALU_DEP_1)
	v_readfirstlane_b32 s3, v0
	s_cmp_eq_u32 s3, 0
	s_cbranch_scc1 .LBB4_977
; %bb.976:                              ;   in Loop: Header=BB4_978 Depth=3
	s_sleep 1
	s_cbranch_execnz .LBB4_978
	s_branch .LBB4_980
.LBB4_977:                              ;   in Loop: Header=BB4_909 Depth=2
	s_branch .LBB4_980
.LBB4_978:                              ;   Parent Loop BB4_3 Depth=1
                                        ;     Parent Loop BB4_909 Depth=2
                                        ; =>    This Inner Loop Header: Depth=3
	v_mov_b32_e32 v0, 1
	s_and_saveexec_b32 s3, s2
	s_cbranch_execz .LBB4_975
; %bb.979:                              ;   in Loop: Header=BB4_978 Depth=3
	global_load_b32 v0, v[42:43], off offset:20 scope:SCOPE_SYS
	s_wait_loadcnt 0x0
	global_inv scope:SCOPE_SYS
	v_and_b32_e32 v0, 1, v0
	s_branch .LBB4_975
.LBB4_980:                              ;   in Loop: Header=BB4_909 Depth=2
	global_load_b64 v[18:19], v[18:19], off
	s_wait_xcnt 0x0
	s_and_saveexec_b32 s22, s2
	s_cbranch_execz .LBB4_908
; %bb.981:                              ;   in Loop: Header=BB4_909 Depth=2
	s_clause 0x2
	global_load_b64 v[20:21], v1, s[12:13] offset:40
	global_load_b64 v[28:29], v1, s[12:13] offset:24 scope:SCOPE_SYS
	global_load_b64 v[22:23], v1, s[12:13]
	s_wait_loadcnt 0x2
	v_readfirstlane_b32 s28, v20
	v_readfirstlane_b32 s29, v21
	s_add_nc_u64 s[2:3], s[28:29], 1
	s_delay_alu instid0(SALU_CYCLE_1) | instskip(NEXT) | instid1(SALU_CYCLE_1)
	s_add_nc_u64 s[20:21], s[2:3], s[20:21]
	s_cmp_eq_u64 s[20:21], 0
	s_cselect_b32 s3, s3, s21
	s_cselect_b32 s2, s2, s20
	s_delay_alu instid0(SALU_CYCLE_1) | instskip(SKIP_1) | instid1(SALU_CYCLE_1)
	v_dual_mov_b32 v27, s3 :: v_dual_mov_b32 v26, s2
	s_and_b64 s[20:21], s[2:3], s[28:29]
	s_mul_u64 s[20:21], s[20:21], 24
	s_wait_loadcnt 0x0
	v_add_nc_u64_e32 v[24:25], s[20:21], v[22:23]
	global_store_b64 v[24:25], v[28:29], off
	global_wb scope:SCOPE_SYS
	s_wait_storecnt 0x0
	s_wait_xcnt 0x0
	global_atomic_cmpswap_b64 v[22:23], v1, v[26:29], s[12:13] offset:24 th:TH_ATOMIC_RETURN scope:SCOPE_SYS
	s_wait_loadcnt 0x0
	v_cmp_ne_u64_e32 vcc_lo, v[22:23], v[28:29]
	s_and_b32 exec_lo, exec_lo, vcc_lo
	s_cbranch_execz .LBB4_908
; %bb.982:                              ;   in Loop: Header=BB4_909 Depth=2
	s_mov_b32 s20, 0
.LBB4_983:                              ;   Parent Loop BB4_3 Depth=1
                                        ;     Parent Loop BB4_909 Depth=2
                                        ; =>    This Inner Loop Header: Depth=3
	v_dual_mov_b32 v20, s2 :: v_dual_mov_b32 v21, s3
	s_sleep 1
	global_store_b64 v[24:25], v[22:23], off
	global_wb scope:SCOPE_SYS
	s_wait_storecnt 0x0
	s_wait_xcnt 0x0
	global_atomic_cmpswap_b64 v[20:21], v1, v[20:23], s[12:13] offset:24 th:TH_ATOMIC_RETURN scope:SCOPE_SYS
	s_wait_loadcnt 0x0
	v_cmp_eq_u64_e32 vcc_lo, v[20:21], v[22:23]
	v_mov_b64_e32 v[22:23], v[20:21]
	s_or_b32 s20, vcc_lo, s20
	s_delay_alu instid0(SALU_CYCLE_1)
	s_and_not1_b32 exec_lo, exec_lo, s20
	s_cbranch_execnz .LBB4_983
	s_branch .LBB4_908
.LBB4_984:                              ;   in Loop: Header=BB4_3 Depth=1
	s_branch .LBB4_1041
.LBB4_985:                              ;   in Loop: Header=BB4_3 Depth=1
                                        ; implicit-def: $vgpr16_vgpr17
	s_cbranch_execz .LBB4_906
; %bb.986:                              ;   in Loop: Header=BB4_3 Depth=1
	v_readfirstlane_b32 s2, v46
	v_mov_b64_e32 v[6:7], 0
	s_delay_alu instid0(VALU_DEP_2)
	v_cmp_eq_u32_e64 s2, s2, v46
	s_and_saveexec_b32 s3, s2
	s_cbranch_execz .LBB4_992
; %bb.987:                              ;   in Loop: Header=BB4_3 Depth=1
	global_load_b64 v[18:19], v1, s[12:13] offset:24 scope:SCOPE_SYS
	s_wait_loadcnt 0x0
	global_inv scope:SCOPE_SYS
	s_clause 0x1
	global_load_b64 v[6:7], v1, s[12:13] offset:40
	global_load_b64 v[16:17], v1, s[12:13]
	s_mov_b32 s14, exec_lo
	s_wait_loadcnt 0x1
	v_and_b32_e32 v6, v6, v18
	v_and_b32_e32 v7, v7, v19
	s_delay_alu instid0(VALU_DEP_1) | instskip(SKIP_1) | instid1(VALU_DEP_1)
	v_mul_u64_e32 v[6:7], 24, v[6:7]
	s_wait_loadcnt 0x0
	v_add_nc_u64_e32 v[6:7], v[16:17], v[6:7]
	global_load_b64 v[16:17], v[6:7], off scope:SCOPE_SYS
	s_wait_xcnt 0x0
	s_wait_loadcnt 0x0
	global_atomic_cmpswap_b64 v[6:7], v1, v[16:19], s[12:13] offset:24 th:TH_ATOMIC_RETURN scope:SCOPE_SYS
	s_wait_loadcnt 0x0
	global_inv scope:SCOPE_SYS
	s_wait_xcnt 0x0
	v_cmpx_ne_u64_e64 v[6:7], v[18:19]
	s_cbranch_execz .LBB4_991
; %bb.988:                              ;   in Loop: Header=BB4_3 Depth=1
	s_mov_b32 s15, 0
.LBB4_989:                              ;   Parent Loop BB4_3 Depth=1
                                        ; =>  This Inner Loop Header: Depth=2
	s_sleep 1
	s_clause 0x1
	global_load_b64 v[16:17], v1, s[12:13] offset:40
	global_load_b64 v[22:23], v1, s[12:13]
	v_mov_b64_e32 v[18:19], v[6:7]
	s_wait_loadcnt 0x1
	s_delay_alu instid0(VALU_DEP_1) | instskip(SKIP_1) | instid1(VALU_DEP_1)
	v_and_b32_e32 v0, v16, v18
	s_wait_loadcnt 0x0
	v_mad_nc_u64_u32 v[6:7], v0, 24, v[22:23]
	s_delay_alu instid0(VALU_DEP_3) | instskip(NEXT) | instid1(VALU_DEP_1)
	v_and_b32_e32 v0, v17, v19
	v_mad_u32 v7, v0, 24, v7
	global_load_b64 v[16:17], v[6:7], off scope:SCOPE_SYS
	s_wait_xcnt 0x0
	s_wait_loadcnt 0x0
	global_atomic_cmpswap_b64 v[6:7], v1, v[16:19], s[12:13] offset:24 th:TH_ATOMIC_RETURN scope:SCOPE_SYS
	s_wait_loadcnt 0x0
	global_inv scope:SCOPE_SYS
	v_cmp_eq_u64_e32 vcc_lo, v[6:7], v[18:19]
	s_or_b32 s15, vcc_lo, s15
	s_wait_xcnt 0x0
	s_and_not1_b32 exec_lo, exec_lo, s15
	s_cbranch_execnz .LBB4_989
; %bb.990:                              ;   in Loop: Header=BB4_3 Depth=1
	s_or_b32 exec_lo, exec_lo, s15
.LBB4_991:                              ;   in Loop: Header=BB4_3 Depth=1
	s_delay_alu instid0(SALU_CYCLE_1)
	s_or_b32 exec_lo, exec_lo, s14
.LBB4_992:                              ;   in Loop: Header=BB4_3 Depth=1
	s_delay_alu instid0(SALU_CYCLE_1)
	s_or_b32 exec_lo, exec_lo, s3
	global_load_b64 v[22:23], v1, s[12:13] offset:40
	s_wait_loadcnt 0x1
	global_load_b128 v[16:19], v1, s[12:13]
	v_readfirstlane_b32 s14, v6
	v_readfirstlane_b32 s15, v7
	s_mov_b32 s3, exec_lo
	s_wait_loadcnt 0x1
	v_and_b32_e32 v22, s14, v22
	v_and_b32_e32 v23, s15, v23
	s_delay_alu instid0(VALU_DEP_1) | instskip(SKIP_1) | instid1(VALU_DEP_1)
	v_mul_u64_e32 v[6:7], 24, v[22:23]
	s_wait_loadcnt 0x0
	v_add_nc_u64_e32 v[6:7], v[16:17], v[6:7]
	s_wait_xcnt 0x0
	s_and_saveexec_b32 s16, s2
	s_cbranch_execz .LBB4_994
; %bb.993:                              ;   in Loop: Header=BB4_3 Depth=1
	v_mov_b32_e32 v0, s3
	global_store_b128 v[6:7], v[0:3], off offset:8
.LBB4_994:                              ;   in Loop: Header=BB4_3 Depth=1
	s_wait_xcnt 0x0
	s_or_b32 exec_lo, exec_lo, s16
	v_lshlrev_b64_e32 v[22:23], 12, v[22:23]
	v_mov_b64_e32 v[28:29], s[6:7]
	v_mov_b64_e32 v[26:27], s[4:5]
	v_and_or_b32 v20, 0xffffff1f, v20, 32
	s_delay_alu instid0(VALU_DEP_4) | instskip(SKIP_1) | instid1(VALU_DEP_2)
	v_add_nc_u64_e32 v[24:25], v[18:19], v[22:23]
	v_dual_mov_b32 v22, v1 :: v_dual_mov_b32 v23, v1
	v_readfirstlane_b32 s16, v24
	s_delay_alu instid0(VALU_DEP_3)
	v_readfirstlane_b32 s17, v25
	s_clause 0x3
	global_store_b128 v50, v[20:23], s[16:17]
	global_store_b128 v50, v[26:29], s[16:17] offset:16
	global_store_b128 v50, v[26:29], s[16:17] offset:32
	;; [unrolled: 1-line block ×3, first 2 shown]
	s_wait_xcnt 0x0
	s_and_saveexec_b32 s3, s2
	s_cbranch_execz .LBB4_1002
; %bb.995:                              ;   in Loop: Header=BB4_3 Depth=1
	s_clause 0x1
	global_load_b64 v[28:29], v1, s[12:13] offset:32 scope:SCOPE_SYS
	global_load_b64 v[18:19], v1, s[12:13] offset:40
	s_mov_b32 s16, exec_lo
	v_dual_mov_b32 v26, s14 :: v_dual_mov_b32 v27, s15
	s_wait_loadcnt 0x0
	v_and_b32_e32 v19, s15, v19
	v_and_b32_e32 v18, s14, v18
	s_delay_alu instid0(VALU_DEP_1) | instskip(NEXT) | instid1(VALU_DEP_1)
	v_mul_u64_e32 v[18:19], 24, v[18:19]
	v_add_nc_u64_e32 v[20:21], v[16:17], v[18:19]
	global_store_b64 v[20:21], v[28:29], off
	global_wb scope:SCOPE_SYS
	s_wait_storecnt 0x0
	s_wait_xcnt 0x0
	global_atomic_cmpswap_b64 v[18:19], v1, v[26:29], s[12:13] offset:32 th:TH_ATOMIC_RETURN scope:SCOPE_SYS
	s_wait_loadcnt 0x0
	v_cmpx_ne_u64_e64 v[18:19], v[28:29]
	s_cbranch_execz .LBB4_998
; %bb.996:                              ;   in Loop: Header=BB4_3 Depth=1
	s_mov_b32 s17, 0
.LBB4_997:                              ;   Parent Loop BB4_3 Depth=1
                                        ; =>  This Inner Loop Header: Depth=2
	v_dual_mov_b32 v16, s14 :: v_dual_mov_b32 v17, s15
	s_sleep 1
	global_store_b64 v[20:21], v[18:19], off
	global_wb scope:SCOPE_SYS
	s_wait_storecnt 0x0
	s_wait_xcnt 0x0
	global_atomic_cmpswap_b64 v[16:17], v1, v[16:19], s[12:13] offset:32 th:TH_ATOMIC_RETURN scope:SCOPE_SYS
	s_wait_loadcnt 0x0
	v_cmp_eq_u64_e32 vcc_lo, v[16:17], v[18:19]
	v_mov_b64_e32 v[18:19], v[16:17]
	s_or_b32 s17, vcc_lo, s17
	s_delay_alu instid0(SALU_CYCLE_1)
	s_and_not1_b32 exec_lo, exec_lo, s17
	s_cbranch_execnz .LBB4_997
.LBB4_998:                              ;   in Loop: Header=BB4_3 Depth=1
	s_or_b32 exec_lo, exec_lo, s16
	global_load_b64 v[16:17], v1, s[12:13] offset:16
	s_mov_b32 s17, exec_lo
	s_mov_b32 s16, exec_lo
	v_mbcnt_lo_u32_b32 v0, s17, 0
	s_wait_xcnt 0x0
	s_delay_alu instid0(VALU_DEP_1)
	v_cmpx_eq_u32_e32 0, v0
	s_cbranch_execz .LBB4_1000
; %bb.999:                              ;   in Loop: Header=BB4_3 Depth=1
	s_bcnt1_i32_b32 s17, s17
	s_delay_alu instid0(SALU_CYCLE_1)
	v_mov_b32_e32 v0, s17
	global_wb scope:SCOPE_SYS
	s_wait_loadcnt 0x0
	s_wait_storecnt 0x0
	global_atomic_add_u64 v[16:17], v[0:1], off offset:8 scope:SCOPE_SYS
.LBB4_1000:                             ;   in Loop: Header=BB4_3 Depth=1
	s_wait_xcnt 0x0
	s_or_b32 exec_lo, exec_lo, s16
	s_wait_loadcnt 0x0
	global_load_b64 v[18:19], v[16:17], off offset:16
	s_wait_loadcnt 0x0
	v_cmp_eq_u64_e32 vcc_lo, 0, v[18:19]
	s_cbranch_vccnz .LBB4_1002
; %bb.1001:                             ;   in Loop: Header=BB4_3 Depth=1
	global_load_b32 v0, v[16:17], off offset:24
	s_wait_loadcnt 0x0
	v_readfirstlane_b32 s16, v0
	global_wb scope:SCOPE_SYS
	s_wait_storecnt 0x0
	s_wait_xcnt 0x0
	global_store_b64 v[18:19], v[0:1], off scope:SCOPE_SYS
	s_and_b32 m0, s16, 0xffffff
	s_sendmsg sendmsg(MSG_INTERRUPT)
.LBB4_1002:                             ;   in Loop: Header=BB4_3 Depth=1
	s_wait_xcnt 0x0
	s_or_b32 exec_lo, exec_lo, s3
	v_mov_b32_e32 v51, v1
	s_delay_alu instid0(VALU_DEP_1)
	v_add_nc_u64_e32 v[16:17], v[24:25], v[50:51]
	s_branch .LBB4_1006
.LBB4_1003:                             ;   in Loop: Header=BB4_1006 Depth=2
	s_wait_xcnt 0x0
	s_or_b32 exec_lo, exec_lo, s3
	s_delay_alu instid0(VALU_DEP_1)
	v_readfirstlane_b32 s3, v0
	s_cmp_eq_u32 s3, 0
	s_cbranch_scc1 .LBB4_1005
; %bb.1004:                             ;   in Loop: Header=BB4_1006 Depth=2
	s_sleep 1
	s_cbranch_execnz .LBB4_1006
	s_branch .LBB4_1008
.LBB4_1005:                             ;   in Loop: Header=BB4_3 Depth=1
	s_branch .LBB4_1008
.LBB4_1006:                             ;   Parent Loop BB4_3 Depth=1
                                        ; =>  This Inner Loop Header: Depth=2
	v_mov_b32_e32 v0, 1
	s_and_saveexec_b32 s3, s2
	s_cbranch_execz .LBB4_1003
; %bb.1007:                             ;   in Loop: Header=BB4_1006 Depth=2
	global_load_b32 v0, v[6:7], off offset:20 scope:SCOPE_SYS
	s_wait_loadcnt 0x0
	global_inv scope:SCOPE_SYS
	v_and_b32_e32 v0, 1, v0
	s_branch .LBB4_1003
.LBB4_1008:                             ;   in Loop: Header=BB4_3 Depth=1
	global_load_b64 v[16:17], v[16:17], off
	s_wait_xcnt 0x0
	s_and_saveexec_b32 s16, s2
	s_cbranch_execz .LBB4_1012
; %bb.1009:                             ;   in Loop: Header=BB4_3 Depth=1
	s_clause 0x2
	global_load_b64 v[6:7], v1, s[12:13] offset:40
	global_load_b64 v[22:23], v1, s[12:13] offset:24 scope:SCOPE_SYS
	global_load_b64 v[18:19], v1, s[12:13]
	s_wait_loadcnt 0x2
	v_readfirstlane_b32 s18, v6
	v_readfirstlane_b32 s19, v7
	s_add_nc_u64 s[2:3], s[18:19], 1
	s_delay_alu instid0(SALU_CYCLE_1) | instskip(NEXT) | instid1(SALU_CYCLE_1)
	s_add_nc_u64 s[14:15], s[2:3], s[14:15]
	s_cmp_eq_u64 s[14:15], 0
	s_cselect_b32 s3, s3, s15
	s_cselect_b32 s2, s2, s14
	s_delay_alu instid0(SALU_CYCLE_1) | instskip(SKIP_1) | instid1(SALU_CYCLE_1)
	v_dual_mov_b32 v21, s3 :: v_dual_mov_b32 v20, s2
	s_and_b64 s[14:15], s[2:3], s[18:19]
	s_mul_u64 s[14:15], s[14:15], 24
	s_wait_loadcnt 0x0
	v_add_nc_u64_e32 v[6:7], s[14:15], v[18:19]
	global_store_b64 v[6:7], v[22:23], off
	global_wb scope:SCOPE_SYS
	s_wait_storecnt 0x0
	s_wait_xcnt 0x0
	global_atomic_cmpswap_b64 v[20:21], v1, v[20:23], s[12:13] offset:24 th:TH_ATOMIC_RETURN scope:SCOPE_SYS
	s_wait_loadcnt 0x0
	v_cmp_ne_u64_e32 vcc_lo, v[20:21], v[22:23]
	s_and_b32 exec_lo, exec_lo, vcc_lo
	s_cbranch_execz .LBB4_1012
; %bb.1010:                             ;   in Loop: Header=BB4_3 Depth=1
	s_mov_b32 s14, 0
.LBB4_1011:                             ;   Parent Loop BB4_3 Depth=1
                                        ; =>  This Inner Loop Header: Depth=2
	v_dual_mov_b32 v18, s2 :: v_dual_mov_b32 v19, s3
	s_sleep 1
	global_store_b64 v[6:7], v[20:21], off
	global_wb scope:SCOPE_SYS
	s_wait_storecnt 0x0
	s_wait_xcnt 0x0
	global_atomic_cmpswap_b64 v[18:19], v1, v[18:21], s[12:13] offset:24 th:TH_ATOMIC_RETURN scope:SCOPE_SYS
	s_wait_loadcnt 0x0
	v_cmp_eq_u64_e32 vcc_lo, v[18:19], v[20:21]
	v_mov_b64_e32 v[20:21], v[18:19]
	s_or_b32 s14, vcc_lo, s14
	s_delay_alu instid0(SALU_CYCLE_1)
	s_and_not1_b32 exec_lo, exec_lo, s14
	s_cbranch_execnz .LBB4_1011
.LBB4_1012:                             ;   in Loop: Header=BB4_3 Depth=1
	s_or_b32 exec_lo, exec_lo, s16
	s_delay_alu instid0(SALU_CYCLE_1)
	s_and_b32 vcc_lo, exec_lo, s26
	s_cbranch_vccnz .LBB4_907
.LBB4_1013:                             ;   in Loop: Header=BB4_3 Depth=1
                                        ; implicit-def: $vgpr18_vgpr19
	s_cbranch_execz .LBB4_1041
; %bb.1014:                             ;   in Loop: Header=BB4_3 Depth=1
	v_readfirstlane_b32 s2, v46
	v_mov_b64_e32 v[6:7], 0
	s_delay_alu instid0(VALU_DEP_2)
	v_cmp_eq_u32_e64 s2, s2, v46
	s_and_saveexec_b32 s3, s2
	s_cbranch_execz .LBB4_1020
; %bb.1015:                             ;   in Loop: Header=BB4_3 Depth=1
	s_wait_loadcnt 0x0
	global_load_b64 v[20:21], v1, s[12:13] offset:24 scope:SCOPE_SYS
	s_wait_loadcnt 0x0
	global_inv scope:SCOPE_SYS
	s_clause 0x1
	global_load_b64 v[6:7], v1, s[12:13] offset:40
	global_load_b64 v[18:19], v1, s[12:13]
	s_mov_b32 s14, exec_lo
	s_wait_loadcnt 0x1
	v_and_b32_e32 v6, v6, v20
	v_and_b32_e32 v7, v7, v21
	s_delay_alu instid0(VALU_DEP_1) | instskip(SKIP_1) | instid1(VALU_DEP_1)
	v_mul_u64_e32 v[6:7], 24, v[6:7]
	s_wait_loadcnt 0x0
	v_add_nc_u64_e32 v[6:7], v[18:19], v[6:7]
	global_load_b64 v[18:19], v[6:7], off scope:SCOPE_SYS
	s_wait_xcnt 0x0
	s_wait_loadcnt 0x0
	global_atomic_cmpswap_b64 v[6:7], v1, v[18:21], s[12:13] offset:24 th:TH_ATOMIC_RETURN scope:SCOPE_SYS
	s_wait_loadcnt 0x0
	global_inv scope:SCOPE_SYS
	s_wait_xcnt 0x0
	v_cmpx_ne_u64_e64 v[6:7], v[20:21]
	s_cbranch_execz .LBB4_1019
; %bb.1016:                             ;   in Loop: Header=BB4_3 Depth=1
	s_mov_b32 s15, 0
.LBB4_1017:                             ;   Parent Loop BB4_3 Depth=1
                                        ; =>  This Inner Loop Header: Depth=2
	s_sleep 1
	s_clause 0x1
	global_load_b64 v[18:19], v1, s[12:13] offset:40
	global_load_b64 v[22:23], v1, s[12:13]
	v_mov_b64_e32 v[20:21], v[6:7]
	s_wait_loadcnt 0x1
	s_delay_alu instid0(VALU_DEP_1) | instskip(SKIP_1) | instid1(VALU_DEP_1)
	v_and_b32_e32 v0, v18, v20
	s_wait_loadcnt 0x0
	v_mad_nc_u64_u32 v[6:7], v0, 24, v[22:23]
	s_delay_alu instid0(VALU_DEP_3) | instskip(NEXT) | instid1(VALU_DEP_1)
	v_and_b32_e32 v0, v19, v21
	v_mad_u32 v7, v0, 24, v7
	global_load_b64 v[18:19], v[6:7], off scope:SCOPE_SYS
	s_wait_xcnt 0x0
	s_wait_loadcnt 0x0
	global_atomic_cmpswap_b64 v[6:7], v1, v[18:21], s[12:13] offset:24 th:TH_ATOMIC_RETURN scope:SCOPE_SYS
	s_wait_loadcnt 0x0
	global_inv scope:SCOPE_SYS
	v_cmp_eq_u64_e32 vcc_lo, v[6:7], v[20:21]
	s_or_b32 s15, vcc_lo, s15
	s_wait_xcnt 0x0
	s_and_not1_b32 exec_lo, exec_lo, s15
	s_cbranch_execnz .LBB4_1017
; %bb.1018:                             ;   in Loop: Header=BB4_3 Depth=1
	s_or_b32 exec_lo, exec_lo, s15
.LBB4_1019:                             ;   in Loop: Header=BB4_3 Depth=1
	s_delay_alu instid0(SALU_CYCLE_1)
	s_or_b32 exec_lo, exec_lo, s14
.LBB4_1020:                             ;   in Loop: Header=BB4_3 Depth=1
	s_delay_alu instid0(SALU_CYCLE_1)
	s_or_b32 exec_lo, exec_lo, s3
	s_wait_loadcnt 0x0
	s_clause 0x1
	global_load_b64 v[18:19], v1, s[12:13] offset:40
	global_load_b128 v[20:23], v1, s[12:13]
	v_readfirstlane_b32 s14, v6
	v_readfirstlane_b32 s15, v7
	s_mov_b32 s3, exec_lo
	s_wait_loadcnt 0x1
	v_and_b32_e32 v18, s14, v18
	v_and_b32_e32 v19, s15, v19
	s_delay_alu instid0(VALU_DEP_1) | instskip(SKIP_1) | instid1(VALU_DEP_1)
	v_mul_u64_e32 v[6:7], 24, v[18:19]
	s_wait_loadcnt 0x0
	v_add_nc_u64_e32 v[6:7], v[20:21], v[6:7]
	s_wait_xcnt 0x0
	s_and_saveexec_b32 s16, s2
	s_cbranch_execz .LBB4_1022
; %bb.1021:                             ;   in Loop: Header=BB4_3 Depth=1
	v_mov_b32_e32 v0, s3
	global_store_b128 v[6:7], v[0:3], off offset:8
.LBB4_1022:                             ;   in Loop: Header=BB4_3 Depth=1
	s_wait_xcnt 0x0
	s_or_b32 exec_lo, exec_lo, s16
	v_lshlrev_b64_e32 v[18:19], 12, v[18:19]
	v_mov_b64_e32 v[26:27], s[6:7]
	v_mov_b64_e32 v[24:25], s[4:5]
	v_and_or_b32 v16, 0xffffff1f, v16, 32
	s_delay_alu instid0(VALU_DEP_4) | instskip(SKIP_1) | instid1(VALU_DEP_2)
	v_add_nc_u64_e32 v[22:23], v[22:23], v[18:19]
	v_dual_mov_b32 v18, v1 :: v_dual_mov_b32 v19, v1
	v_readfirstlane_b32 s16, v22
	s_delay_alu instid0(VALU_DEP_3)
	v_readfirstlane_b32 s17, v23
	s_clause 0x3
	global_store_b128 v50, v[16:19], s[16:17]
	global_store_b128 v50, v[24:27], s[16:17] offset:16
	global_store_b128 v50, v[24:27], s[16:17] offset:32
	;; [unrolled: 1-line block ×3, first 2 shown]
	s_wait_xcnt 0x0
	s_and_saveexec_b32 s3, s2
	s_cbranch_execz .LBB4_1030
; %bb.1023:                             ;   in Loop: Header=BB4_3 Depth=1
	s_clause 0x1
	global_load_b64 v[26:27], v1, s[12:13] offset:32 scope:SCOPE_SYS
	global_load_b64 v[16:17], v1, s[12:13] offset:40
	s_mov_b32 s16, exec_lo
	v_dual_mov_b32 v24, s14 :: v_dual_mov_b32 v25, s15
	s_wait_loadcnt 0x0
	v_and_b32_e32 v17, s15, v17
	v_and_b32_e32 v16, s14, v16
	s_delay_alu instid0(VALU_DEP_1) | instskip(NEXT) | instid1(VALU_DEP_1)
	v_mul_u64_e32 v[16:17], 24, v[16:17]
	v_add_nc_u64_e32 v[20:21], v[20:21], v[16:17]
	global_store_b64 v[20:21], v[26:27], off
	global_wb scope:SCOPE_SYS
	s_wait_storecnt 0x0
	s_wait_xcnt 0x0
	global_atomic_cmpswap_b64 v[18:19], v1, v[24:27], s[12:13] offset:32 th:TH_ATOMIC_RETURN scope:SCOPE_SYS
	s_wait_loadcnt 0x0
	v_cmpx_ne_u64_e64 v[18:19], v[26:27]
	s_cbranch_execz .LBB4_1026
; %bb.1024:                             ;   in Loop: Header=BB4_3 Depth=1
	s_mov_b32 s17, 0
.LBB4_1025:                             ;   Parent Loop BB4_3 Depth=1
                                        ; =>  This Inner Loop Header: Depth=2
	v_dual_mov_b32 v16, s14 :: v_dual_mov_b32 v17, s15
	s_sleep 1
	global_store_b64 v[20:21], v[18:19], off
	global_wb scope:SCOPE_SYS
	s_wait_storecnt 0x0
	s_wait_xcnt 0x0
	global_atomic_cmpswap_b64 v[16:17], v1, v[16:19], s[12:13] offset:32 th:TH_ATOMIC_RETURN scope:SCOPE_SYS
	s_wait_loadcnt 0x0
	v_cmp_eq_u64_e32 vcc_lo, v[16:17], v[18:19]
	v_mov_b64_e32 v[18:19], v[16:17]
	s_or_b32 s17, vcc_lo, s17
	s_delay_alu instid0(SALU_CYCLE_1)
	s_and_not1_b32 exec_lo, exec_lo, s17
	s_cbranch_execnz .LBB4_1025
.LBB4_1026:                             ;   in Loop: Header=BB4_3 Depth=1
	s_or_b32 exec_lo, exec_lo, s16
	global_load_b64 v[16:17], v1, s[12:13] offset:16
	s_mov_b32 s17, exec_lo
	s_mov_b32 s16, exec_lo
	v_mbcnt_lo_u32_b32 v0, s17, 0
	s_wait_xcnt 0x0
	s_delay_alu instid0(VALU_DEP_1)
	v_cmpx_eq_u32_e32 0, v0
	s_cbranch_execz .LBB4_1028
; %bb.1027:                             ;   in Loop: Header=BB4_3 Depth=1
	s_bcnt1_i32_b32 s17, s17
	s_delay_alu instid0(SALU_CYCLE_1)
	v_mov_b32_e32 v0, s17
	global_wb scope:SCOPE_SYS
	s_wait_loadcnt 0x0
	s_wait_storecnt 0x0
	global_atomic_add_u64 v[16:17], v[0:1], off offset:8 scope:SCOPE_SYS
.LBB4_1028:                             ;   in Loop: Header=BB4_3 Depth=1
	s_wait_xcnt 0x0
	s_or_b32 exec_lo, exec_lo, s16
	s_wait_loadcnt 0x0
	global_load_b64 v[18:19], v[16:17], off offset:16
	s_wait_loadcnt 0x0
	v_cmp_eq_u64_e32 vcc_lo, 0, v[18:19]
	s_cbranch_vccnz .LBB4_1030
; %bb.1029:                             ;   in Loop: Header=BB4_3 Depth=1
	global_load_b32 v0, v[16:17], off offset:24
	s_wait_loadcnt 0x0
	v_readfirstlane_b32 s16, v0
	global_wb scope:SCOPE_SYS
	s_wait_storecnt 0x0
	s_wait_xcnt 0x0
	global_store_b64 v[18:19], v[0:1], off scope:SCOPE_SYS
	s_and_b32 m0, s16, 0xffffff
	s_sendmsg sendmsg(MSG_INTERRUPT)
.LBB4_1030:                             ;   in Loop: Header=BB4_3 Depth=1
	s_wait_xcnt 0x0
	s_or_b32 exec_lo, exec_lo, s3
	v_mov_b32_e32 v51, v1
	s_delay_alu instid0(VALU_DEP_1)
	v_add_nc_u64_e32 v[16:17], v[22:23], v[50:51]
	s_branch .LBB4_1034
.LBB4_1031:                             ;   in Loop: Header=BB4_1034 Depth=2
	s_wait_xcnt 0x0
	s_or_b32 exec_lo, exec_lo, s3
	s_delay_alu instid0(VALU_DEP_1)
	v_readfirstlane_b32 s3, v0
	s_cmp_eq_u32 s3, 0
	s_cbranch_scc1 .LBB4_1033
; %bb.1032:                             ;   in Loop: Header=BB4_1034 Depth=2
	s_sleep 1
	s_cbranch_execnz .LBB4_1034
	s_branch .LBB4_1036
.LBB4_1033:                             ;   in Loop: Header=BB4_3 Depth=1
	s_branch .LBB4_1036
.LBB4_1034:                             ;   Parent Loop BB4_3 Depth=1
                                        ; =>  This Inner Loop Header: Depth=2
	v_mov_b32_e32 v0, 1
	s_and_saveexec_b32 s3, s2
	s_cbranch_execz .LBB4_1031
; %bb.1035:                             ;   in Loop: Header=BB4_1034 Depth=2
	global_load_b32 v0, v[6:7], off offset:20 scope:SCOPE_SYS
	s_wait_loadcnt 0x0
	global_inv scope:SCOPE_SYS
	v_and_b32_e32 v0, 1, v0
	s_branch .LBB4_1031
.LBB4_1036:                             ;   in Loop: Header=BB4_3 Depth=1
	global_load_b64 v[18:19], v[16:17], off
	s_wait_xcnt 0x0
	s_and_saveexec_b32 s16, s2
	s_cbranch_execz .LBB4_1040
; %bb.1037:                             ;   in Loop: Header=BB4_3 Depth=1
	s_clause 0x2
	global_load_b64 v[6:7], v1, s[12:13] offset:40
	global_load_b64 v[24:25], v1, s[12:13] offset:24 scope:SCOPE_SYS
	global_load_b64 v[16:17], v1, s[12:13]
	s_wait_loadcnt 0x2
	v_readfirstlane_b32 s18, v6
	v_readfirstlane_b32 s19, v7
	s_add_nc_u64 s[2:3], s[18:19], 1
	s_delay_alu instid0(SALU_CYCLE_1) | instskip(NEXT) | instid1(SALU_CYCLE_1)
	s_add_nc_u64 s[14:15], s[2:3], s[14:15]
	s_cmp_eq_u64 s[14:15], 0
	s_cselect_b32 s3, s3, s15
	s_cselect_b32 s2, s2, s14
	s_delay_alu instid0(SALU_CYCLE_1) | instskip(SKIP_1) | instid1(SALU_CYCLE_1)
	v_dual_mov_b32 v23, s3 :: v_dual_mov_b32 v22, s2
	s_and_b64 s[14:15], s[2:3], s[18:19]
	s_mul_u64 s[14:15], s[14:15], 24
	s_wait_loadcnt 0x0
	v_add_nc_u64_e32 v[6:7], s[14:15], v[16:17]
	global_store_b64 v[6:7], v[24:25], off
	global_wb scope:SCOPE_SYS
	s_wait_storecnt 0x0
	s_wait_xcnt 0x0
	global_atomic_cmpswap_b64 v[22:23], v1, v[22:25], s[12:13] offset:24 th:TH_ATOMIC_RETURN scope:SCOPE_SYS
	s_wait_loadcnt 0x0
	v_cmp_ne_u64_e32 vcc_lo, v[22:23], v[24:25]
	s_and_b32 exec_lo, exec_lo, vcc_lo
	s_cbranch_execz .LBB4_1040
; %bb.1038:                             ;   in Loop: Header=BB4_3 Depth=1
	s_mov_b32 s14, 0
.LBB4_1039:                             ;   Parent Loop BB4_3 Depth=1
                                        ; =>  This Inner Loop Header: Depth=2
	v_dual_mov_b32 v20, s2 :: v_dual_mov_b32 v21, s3
	s_sleep 1
	global_store_b64 v[6:7], v[22:23], off
	global_wb scope:SCOPE_SYS
	s_wait_storecnt 0x0
	s_wait_xcnt 0x0
	global_atomic_cmpswap_b64 v[16:17], v1, v[20:23], s[12:13] offset:24 th:TH_ATOMIC_RETURN scope:SCOPE_SYS
	s_wait_loadcnt 0x0
	v_cmp_eq_u64_e32 vcc_lo, v[16:17], v[22:23]
	v_mov_b64_e32 v[22:23], v[16:17]
	s_or_b32 s14, vcc_lo, s14
	s_delay_alu instid0(SALU_CYCLE_1)
	s_and_not1_b32 exec_lo, exec_lo, s14
	s_cbranch_execnz .LBB4_1039
.LBB4_1040:                             ;   in Loop: Header=BB4_3 Depth=1
	s_or_b32 exec_lo, exec_lo, s16
.LBB4_1041:                             ;   in Loop: Header=BB4_3 Depth=1
	v_readfirstlane_b32 s2, v46
	v_mov_b64_e32 v[6:7], 0
	s_delay_alu instid0(VALU_DEP_2)
	v_cmp_eq_u32_e64 s2, s2, v46
	s_and_saveexec_b32 s3, s2
	s_cbranch_execz .LBB4_1047
; %bb.1042:                             ;   in Loop: Header=BB4_3 Depth=1
	global_load_b64 v[22:23], v1, s[12:13] offset:24 scope:SCOPE_SYS
	s_wait_loadcnt 0x0
	global_inv scope:SCOPE_SYS
	s_clause 0x1
	global_load_b64 v[6:7], v1, s[12:13] offset:40
	global_load_b64 v[16:17], v1, s[12:13]
	s_mov_b32 s14, exec_lo
	s_wait_loadcnt 0x1
	v_and_b32_e32 v6, v6, v22
	v_and_b32_e32 v7, v7, v23
	s_delay_alu instid0(VALU_DEP_1) | instskip(SKIP_1) | instid1(VALU_DEP_1)
	v_mul_u64_e32 v[6:7], 24, v[6:7]
	s_wait_loadcnt 0x0
	v_add_nc_u64_e32 v[6:7], v[16:17], v[6:7]
	global_load_b64 v[20:21], v[6:7], off scope:SCOPE_SYS
	s_wait_xcnt 0x0
	s_wait_loadcnt 0x0
	global_atomic_cmpswap_b64 v[6:7], v1, v[20:23], s[12:13] offset:24 th:TH_ATOMIC_RETURN scope:SCOPE_SYS
	s_wait_loadcnt 0x0
	global_inv scope:SCOPE_SYS
	s_wait_xcnt 0x0
	v_cmpx_ne_u64_e64 v[6:7], v[22:23]
	s_cbranch_execz .LBB4_1046
; %bb.1043:                             ;   in Loop: Header=BB4_3 Depth=1
	s_mov_b32 s15, 0
.LBB4_1044:                             ;   Parent Loop BB4_3 Depth=1
                                        ; =>  This Inner Loop Header: Depth=2
	s_sleep 1
	s_clause 0x1
	global_load_b64 v[16:17], v1, s[12:13] offset:40
	global_load_b64 v[20:21], v1, s[12:13]
	v_mov_b64_e32 v[22:23], v[6:7]
	s_wait_loadcnt 0x1
	s_delay_alu instid0(VALU_DEP_1) | instskip(SKIP_1) | instid1(VALU_DEP_1)
	v_and_b32_e32 v0, v16, v22
	s_wait_loadcnt 0x0
	v_mad_nc_u64_u32 v[6:7], v0, 24, v[20:21]
	s_delay_alu instid0(VALU_DEP_3) | instskip(NEXT) | instid1(VALU_DEP_1)
	v_and_b32_e32 v0, v17, v23
	v_mad_u32 v7, v0, 24, v7
	global_load_b64 v[20:21], v[6:7], off scope:SCOPE_SYS
	s_wait_xcnt 0x0
	s_wait_loadcnt 0x0
	global_atomic_cmpswap_b64 v[6:7], v1, v[20:23], s[12:13] offset:24 th:TH_ATOMIC_RETURN scope:SCOPE_SYS
	s_wait_loadcnt 0x0
	global_inv scope:SCOPE_SYS
	v_cmp_eq_u64_e32 vcc_lo, v[6:7], v[22:23]
	s_or_b32 s15, vcc_lo, s15
	s_wait_xcnt 0x0
	s_and_not1_b32 exec_lo, exec_lo, s15
	s_cbranch_execnz .LBB4_1044
; %bb.1045:                             ;   in Loop: Header=BB4_3 Depth=1
	s_or_b32 exec_lo, exec_lo, s15
.LBB4_1046:                             ;   in Loop: Header=BB4_3 Depth=1
	s_delay_alu instid0(SALU_CYCLE_1)
	s_or_b32 exec_lo, exec_lo, s14
.LBB4_1047:                             ;   in Loop: Header=BB4_3 Depth=1
	s_delay_alu instid0(SALU_CYCLE_1)
	s_or_b32 exec_lo, exec_lo, s3
	s_wait_loadcnt 0x0
	s_clause 0x1
	global_load_b64 v[16:17], v1, s[12:13] offset:40
	global_load_b128 v[22:25], v1, s[12:13]
	v_readfirstlane_b32 s14, v6
	v_readfirstlane_b32 s15, v7
	s_mov_b32 s3, exec_lo
	s_wait_loadcnt 0x1
	v_and_b32_e32 v16, s14, v16
	v_and_b32_e32 v17, s15, v17
	s_delay_alu instid0(VALU_DEP_1) | instskip(SKIP_1) | instid1(VALU_DEP_1)
	v_mul_u64_e32 v[6:7], 24, v[16:17]
	s_wait_loadcnt 0x0
	v_add_nc_u64_e32 v[6:7], v[22:23], v[6:7]
	s_wait_xcnt 0x0
	s_and_saveexec_b32 s16, s2
	s_cbranch_execz .LBB4_1049
; %bb.1048:                             ;   in Loop: Header=BB4_3 Depth=1
	v_mov_b32_e32 v0, s3
	global_store_b128 v[6:7], v[0:3], off offset:8
.LBB4_1049:                             ;   in Loop: Header=BB4_3 Depth=1
	s_wait_xcnt 0x0
	s_or_b32 exec_lo, exec_lo, s16
	v_mul_u64_e32 v[20:21], v[40:41], v[48:49]
	v_lshlrev_b64_e32 v[16:17], 12, v[16:17]
	v_mov_b64_e32 v[28:29], s[6:7]
	v_mov_b64_e32 v[26:27], s[4:5]
	v_and_or_b32 v18, 0xffffff1d, v18, 34
	s_delay_alu instid0(VALU_DEP_4) | instskip(NEXT) | instid1(VALU_DEP_1)
	v_add_nc_u64_e32 v[24:25], v[24:25], v[16:17]
	v_readfirstlane_b32 s16, v24
	s_delay_alu instid0(VALU_DEP_2) | instskip(SKIP_1) | instid1(VALU_DEP_1)
	v_readfirstlane_b32 s17, v25
	v_mul_lo_u32 v0, v21, v58
	v_dual_add_nc_u32 v5, 1, v21 :: v_dual_sub_nc_u32 v0, v40, v0
	s_delay_alu instid0(VALU_DEP_1) | instskip(NEXT) | instid1(VALU_DEP_2)
	v_cmp_ge_u32_e32 vcc_lo, v0, v58
	v_dual_cndmask_b32 v5, v21, v5 :: v_dual_sub_nc_u32 v16, v0, v58
	s_delay_alu instid0(VALU_DEP_1) | instskip(NEXT) | instid1(VALU_DEP_2)
	v_dual_cndmask_b32 v0, v0, v16 :: v_dual_mov_b32 v21, v1
	v_add_nc_u32_e32 v16, 1, v5
	s_delay_alu instid0(VALU_DEP_2) | instskip(NEXT) | instid1(VALU_DEP_2)
	v_cmp_ge_u32_e32 vcc_lo, v0, v58
	v_cndmask_b32_e32 v20, v5, v16, vcc_lo
	s_clause 0x3
	global_store_b128 v50, v[18:21], s[16:17]
	global_store_b128 v50, v[26:29], s[16:17] offset:16
	global_store_b128 v50, v[26:29], s[16:17] offset:32
	;; [unrolled: 1-line block ×3, first 2 shown]
	s_wait_xcnt 0x0
	s_and_saveexec_b32 s3, s2
	s_cbranch_execz .LBB4_1057
; %bb.1050:                             ;   in Loop: Header=BB4_3 Depth=1
	s_clause 0x1
	global_load_b64 v[28:29], v1, s[12:13] offset:32 scope:SCOPE_SYS
	global_load_b64 v[16:17], v1, s[12:13] offset:40
	s_mov_b32 s16, exec_lo
	v_dual_mov_b32 v26, s14 :: v_dual_mov_b32 v27, s15
	s_wait_loadcnt 0x0
	v_and_b32_e32 v17, s15, v17
	v_and_b32_e32 v16, s14, v16
	s_delay_alu instid0(VALU_DEP_1) | instskip(NEXT) | instid1(VALU_DEP_1)
	v_mul_u64_e32 v[16:17], 24, v[16:17]
	v_add_nc_u64_e32 v[20:21], v[22:23], v[16:17]
	global_store_b64 v[20:21], v[28:29], off
	global_wb scope:SCOPE_SYS
	s_wait_storecnt 0x0
	s_wait_xcnt 0x0
	global_atomic_cmpswap_b64 v[18:19], v1, v[26:29], s[12:13] offset:32 th:TH_ATOMIC_RETURN scope:SCOPE_SYS
	s_wait_loadcnt 0x0
	v_cmpx_ne_u64_e64 v[18:19], v[28:29]
	s_cbranch_execz .LBB4_1053
; %bb.1051:                             ;   in Loop: Header=BB4_3 Depth=1
	s_mov_b32 s17, 0
.LBB4_1052:                             ;   Parent Loop BB4_3 Depth=1
                                        ; =>  This Inner Loop Header: Depth=2
	v_dual_mov_b32 v16, s14 :: v_dual_mov_b32 v17, s15
	s_sleep 1
	global_store_b64 v[20:21], v[18:19], off
	global_wb scope:SCOPE_SYS
	s_wait_storecnt 0x0
	s_wait_xcnt 0x0
	global_atomic_cmpswap_b64 v[16:17], v1, v[16:19], s[12:13] offset:32 th:TH_ATOMIC_RETURN scope:SCOPE_SYS
	s_wait_loadcnt 0x0
	v_cmp_eq_u64_e32 vcc_lo, v[16:17], v[18:19]
	v_mov_b64_e32 v[18:19], v[16:17]
	s_or_b32 s17, vcc_lo, s17
	s_delay_alu instid0(SALU_CYCLE_1)
	s_and_not1_b32 exec_lo, exec_lo, s17
	s_cbranch_execnz .LBB4_1052
.LBB4_1053:                             ;   in Loop: Header=BB4_3 Depth=1
	s_or_b32 exec_lo, exec_lo, s16
	global_load_b64 v[16:17], v1, s[12:13] offset:16
	s_mov_b32 s17, exec_lo
	s_mov_b32 s16, exec_lo
	v_mbcnt_lo_u32_b32 v0, s17, 0
	s_wait_xcnt 0x0
	s_delay_alu instid0(VALU_DEP_1)
	v_cmpx_eq_u32_e32 0, v0
	s_cbranch_execz .LBB4_1055
; %bb.1054:                             ;   in Loop: Header=BB4_3 Depth=1
	s_bcnt1_i32_b32 s17, s17
	s_delay_alu instid0(SALU_CYCLE_1)
	v_mov_b32_e32 v0, s17
	global_wb scope:SCOPE_SYS
	s_wait_loadcnt 0x0
	s_wait_storecnt 0x0
	global_atomic_add_u64 v[16:17], v[0:1], off offset:8 scope:SCOPE_SYS
.LBB4_1055:                             ;   in Loop: Header=BB4_3 Depth=1
	s_wait_xcnt 0x0
	s_or_b32 exec_lo, exec_lo, s16
	s_wait_loadcnt 0x0
	global_load_b64 v[18:19], v[16:17], off offset:16
	s_wait_loadcnt 0x0
	v_cmp_eq_u64_e32 vcc_lo, 0, v[18:19]
	s_cbranch_vccnz .LBB4_1057
; %bb.1056:                             ;   in Loop: Header=BB4_3 Depth=1
	global_load_b32 v0, v[16:17], off offset:24
	s_wait_loadcnt 0x0
	v_readfirstlane_b32 s16, v0
	global_wb scope:SCOPE_SYS
	s_wait_storecnt 0x0
	s_wait_xcnt 0x0
	global_store_b64 v[18:19], v[0:1], off scope:SCOPE_SYS
	s_and_b32 m0, s16, 0xffffff
	s_sendmsg sendmsg(MSG_INTERRUPT)
.LBB4_1057:                             ;   in Loop: Header=BB4_3 Depth=1
	s_wait_xcnt 0x0
	s_or_b32 exec_lo, exec_lo, s3
	v_mov_b32_e32 v51, v1
	s_delay_alu instid0(VALU_DEP_1)
	v_add_nc_u64_e32 v[16:17], v[24:25], v[50:51]
	s_branch .LBB4_1061
.LBB4_1058:                             ;   in Loop: Header=BB4_1061 Depth=2
	s_wait_xcnt 0x0
	s_or_b32 exec_lo, exec_lo, s3
	s_delay_alu instid0(VALU_DEP_1)
	v_readfirstlane_b32 s3, v0
	s_cmp_eq_u32 s3, 0
	s_cbranch_scc1 .LBB4_1060
; %bb.1059:                             ;   in Loop: Header=BB4_1061 Depth=2
	s_sleep 1
	s_cbranch_execnz .LBB4_1061
	s_branch .LBB4_1063
.LBB4_1060:                             ;   in Loop: Header=BB4_3 Depth=1
	s_branch .LBB4_1063
.LBB4_1061:                             ;   Parent Loop BB4_3 Depth=1
                                        ; =>  This Inner Loop Header: Depth=2
	v_mov_b32_e32 v0, 1
	s_and_saveexec_b32 s3, s2
	s_cbranch_execz .LBB4_1058
; %bb.1062:                             ;   in Loop: Header=BB4_1061 Depth=2
	global_load_b32 v0, v[6:7], off offset:20 scope:SCOPE_SYS
	s_wait_loadcnt 0x0
	global_inv scope:SCOPE_SYS
	v_and_b32_e32 v0, 1, v0
	s_branch .LBB4_1058
.LBB4_1063:                             ;   in Loop: Header=BB4_3 Depth=1
	global_load_b64 v[6:7], v[16:17], off
	s_wait_xcnt 0x0
	s_and_saveexec_b32 s16, s2
	s_cbranch_execz .LBB4_2
; %bb.1064:                             ;   in Loop: Header=BB4_3 Depth=1
	s_clause 0x2
	global_load_b64 v[16:17], v1, s[12:13] offset:40
	global_load_b64 v[24:25], v1, s[12:13] offset:24 scope:SCOPE_SYS
	global_load_b64 v[18:19], v1, s[12:13]
	s_wait_loadcnt 0x2
	v_readfirstlane_b32 s18, v16
	v_readfirstlane_b32 s19, v17
	s_add_nc_u64 s[2:3], s[18:19], 1
	s_delay_alu instid0(SALU_CYCLE_1) | instskip(NEXT) | instid1(SALU_CYCLE_1)
	s_add_nc_u64 s[14:15], s[2:3], s[14:15]
	s_cmp_eq_u64 s[14:15], 0
	s_cselect_b32 s3, s3, s15
	s_cselect_b32 s2, s2, s14
	s_delay_alu instid0(SALU_CYCLE_1) | instskip(SKIP_1) | instid1(SALU_CYCLE_1)
	v_dual_mov_b32 v23, s3 :: v_dual_mov_b32 v22, s2
	s_and_b64 s[14:15], s[2:3], s[18:19]
	s_mul_u64 s[14:15], s[14:15], 24
	s_wait_loadcnt 0x0
	v_add_nc_u64_e32 v[20:21], s[14:15], v[18:19]
	global_store_b64 v[20:21], v[24:25], off
	global_wb scope:SCOPE_SYS
	s_wait_storecnt 0x0
	s_wait_xcnt 0x0
	global_atomic_cmpswap_b64 v[18:19], v1, v[22:25], s[12:13] offset:24 th:TH_ATOMIC_RETURN scope:SCOPE_SYS
	s_wait_loadcnt 0x0
	v_cmp_ne_u64_e32 vcc_lo, v[18:19], v[24:25]
	s_and_b32 exec_lo, exec_lo, vcc_lo
	s_cbranch_execz .LBB4_2
; %bb.1065:                             ;   in Loop: Header=BB4_3 Depth=1
	s_mov_b32 s14, 0
.LBB4_1066:                             ;   Parent Loop BB4_3 Depth=1
                                        ; =>  This Inner Loop Header: Depth=2
	v_dual_mov_b32 v16, s2 :: v_dual_mov_b32 v17, s3
	s_sleep 1
	global_store_b64 v[20:21], v[18:19], off
	global_wb scope:SCOPE_SYS
	s_wait_storecnt 0x0
	s_wait_xcnt 0x0
	global_atomic_cmpswap_b64 v[16:17], v1, v[16:19], s[12:13] offset:24 th:TH_ATOMIC_RETURN scope:SCOPE_SYS
	s_wait_loadcnt 0x0
	v_cmp_eq_u64_e32 vcc_lo, v[16:17], v[18:19]
	v_mov_b64_e32 v[18:19], v[16:17]
	s_or_b32 s14, vcc_lo, s14
	s_delay_alu instid0(SALU_CYCLE_1)
	s_and_not1_b32 exec_lo, exec_lo, s14
	s_cbranch_execnz .LBB4_1066
	s_branch .LBB4_2
.LBB4_1067:
	v_mov_b32_e32 v59, 0
.LBB4_1068:
	s_load_b64 s[0:1], s[0:1], 0x8
	s_wait_kmcnt 0x0
	global_store_b32 v47, v59, s[0:1] scale_offset
	s_endpgm
	.section	.rodata,"a",@progbits
	.p2align	6, 0x0
	.amdhsa_kernel _ZN19hipPrintfStressTest21kernel_dependent_calcEjPi
		.amdhsa_group_segment_fixed_size 0
		.amdhsa_private_segment_fixed_size 0
		.amdhsa_kernarg_size 272
		.amdhsa_user_sgpr_count 2
		.amdhsa_user_sgpr_dispatch_ptr 0
		.amdhsa_user_sgpr_queue_ptr 0
		.amdhsa_user_sgpr_kernarg_segment_ptr 1
		.amdhsa_user_sgpr_dispatch_id 0
		.amdhsa_user_sgpr_kernarg_preload_length 0
		.amdhsa_user_sgpr_kernarg_preload_offset 0
		.amdhsa_user_sgpr_private_segment_size 0
		.amdhsa_wavefront_size32 1
		.amdhsa_uses_dynamic_stack 0
		.amdhsa_enable_private_segment 0
		.amdhsa_system_sgpr_workgroup_id_x 1
		.amdhsa_system_sgpr_workgroup_id_y 0
		.amdhsa_system_sgpr_workgroup_id_z 0
		.amdhsa_system_sgpr_workgroup_info 0
		.amdhsa_system_vgpr_workitem_id 0
		.amdhsa_next_free_vgpr 60
		.amdhsa_next_free_sgpr 32
		.amdhsa_named_barrier_count 0
		.amdhsa_reserve_vcc 1
		.amdhsa_float_round_mode_32 0
		.amdhsa_float_round_mode_16_64 0
		.amdhsa_float_denorm_mode_32 3
		.amdhsa_float_denorm_mode_16_64 3
		.amdhsa_fp16_overflow 0
		.amdhsa_memory_ordered 1
		.amdhsa_forward_progress 1
		.amdhsa_inst_pref_size 255
		.amdhsa_round_robin_scheduling 0
		.amdhsa_exception_fp_ieee_invalid_op 0
		.amdhsa_exception_fp_denorm_src 0
		.amdhsa_exception_fp_ieee_div_zero 0
		.amdhsa_exception_fp_ieee_overflow 0
		.amdhsa_exception_fp_ieee_underflow 0
		.amdhsa_exception_fp_ieee_inexact 0
		.amdhsa_exception_int_div_zero 0
	.end_amdhsa_kernel
	.text
.Lfunc_end4:
	.size	_ZN19hipPrintfStressTest21kernel_dependent_calcEjPi, .Lfunc_end4-_ZN19hipPrintfStressTest21kernel_dependent_calcEjPi
                                        ; -- End function
	.set _ZN19hipPrintfStressTest21kernel_dependent_calcEjPi.num_vgpr, 60
	.set _ZN19hipPrintfStressTest21kernel_dependent_calcEjPi.num_agpr, 0
	.set _ZN19hipPrintfStressTest21kernel_dependent_calcEjPi.numbered_sgpr, 32
	.set _ZN19hipPrintfStressTest21kernel_dependent_calcEjPi.num_named_barrier, 0
	.set _ZN19hipPrintfStressTest21kernel_dependent_calcEjPi.private_seg_size, 0
	.set _ZN19hipPrintfStressTest21kernel_dependent_calcEjPi.uses_vcc, 1
	.set _ZN19hipPrintfStressTest21kernel_dependent_calcEjPi.uses_flat_scratch, 0
	.set _ZN19hipPrintfStressTest21kernel_dependent_calcEjPi.has_dyn_sized_stack, 0
	.set _ZN19hipPrintfStressTest21kernel_dependent_calcEjPi.has_recursion, 0
	.set _ZN19hipPrintfStressTest21kernel_dependent_calcEjPi.has_indirect_call, 0
	.section	.AMDGPU.csdata,"",@progbits
; Kernel info:
; codeLenInByte = 42676
; TotalNumSgprs: 34
; NumVgprs: 60
; ScratchSize: 0
; MemoryBound: 0
; FloatMode: 240
; IeeeMode: 1
; LDSByteSize: 0 bytes/workgroup (compile time only)
; SGPRBlocks: 0
; VGPRBlocks: 3
; NumSGPRsForWavesPerEU: 34
; NumVGPRsForWavesPerEU: 60
; NamedBarCnt: 0
; Occupancy: 16
; WaveLimiterHint : 1
; COMPUTE_PGM_RSRC2:SCRATCH_EN: 0
; COMPUTE_PGM_RSRC2:USER_SGPR: 2
; COMPUTE_PGM_RSRC2:TRAP_HANDLER: 0
; COMPUTE_PGM_RSRC2:TGID_X_EN: 1
; COMPUTE_PGM_RSRC2:TGID_Y_EN: 0
; COMPUTE_PGM_RSRC2:TGID_Z_EN: 0
; COMPUTE_PGM_RSRC2:TIDIG_COMP_CNT: 0
	.text
	.protected	_ZN19hipPrintfStressTest28kernel_dependent_calc_atomicEjPi ; -- Begin function _ZN19hipPrintfStressTest28kernel_dependent_calc_atomicEjPi
	.globl	_ZN19hipPrintfStressTest28kernel_dependent_calc_atomicEjPi
	.p2align	8
	.type	_ZN19hipPrintfStressTest28kernel_dependent_calc_atomicEjPi,@function
_ZN19hipPrintfStressTest28kernel_dependent_calc_atomicEjPi: ; @_ZN19hipPrintfStressTest28kernel_dependent_calc_atomicEjPi
; %bb.0:
	s_clause 0x1
	s_load_b32 s2, s[0:1], 0x1c
	s_load_b32 s24, s[0:1], 0x0
	s_bfe_u32 s3, ttmp6, 0x4000c
	s_and_b32 s4, ttmp6, 15
	s_add_co_i32 s3, s3, 1
	s_getreg_b32 s5, hwreg(HW_REG_IB_STS2, 6, 4)
	s_mul_i32 s3, ttmp9, s3
	s_delay_alu instid0(SALU_CYCLE_1)
	s_add_co_i32 s4, s4, s3
	s_wait_kmcnt 0x0
	s_and_b32 s2, s2, 0xffff
	s_cmp_eq_u32 s5, 0
	s_cselect_b32 s3, ttmp9, s4
	s_cmp_eq_u32 s24, 0
	v_mad_u32 v39, s3, s2, v0
	s_mov_b32 s4, 0
	s_cbranch_scc1 .LBB5_1067
; %bb.1:
	v_mbcnt_lo_u32_b32 v38, -1, 0
	v_mov_b32_e32 v6, 0
	s_add_nc_u64 s[2:3], s[0:1], 16
	v_mov_b32_e32 v1, 0
	s_load_b64 s[12:13], s[2:3], 0x50
	v_dual_mov_b32 v8, 33 :: v_dual_lshlrev_b32 v7, 20, v38
	s_mov_b32 s6, s4
	s_mov_b32 s7, s4
	;; [unrolled: 1-line block ×3, first 2 shown]
	s_delay_alu instid0(VALU_DEP_1)
	v_add_nc_u64_e32 v[40:41], src_flat_scratch_base_lo, v[6:7]
	v_mov_b32_e32 v6, 4
	s_get_pc_i64 s[8:9]
	s_add_nc_u64 s[8:9], s[8:9], .str.7@rel64+4
	v_mov_b64_e32 v[14:15], s[6:7]
	v_mov_b64_e32 v[2:3], 0x100000002
	v_mov_b32_e32 v4, 33
	v_add_nc_u64_e32 v[42:43], src_flat_scratch_base_lo, v[6:7]
	v_mov_b32_e32 v6, 8
	v_mov_b64_e32 v[12:13], s[4:5]
	s_get_pc_i64 s[10:11]
	s_add_nc_u64 s[10:11], s[10:11], .str.6@rel64+4
	s_cmp_lg_u64 s[8:9], 0
	v_dual_mov_b32 v60, 0xffff :: v_dual_mov_b32 v9, v1
	v_add_nc_u64_e32 v[44:45], src_flat_scratch_base_lo, v[6:7]
	v_dual_mov_b32 v6, 12 :: v_dual_lshlrev_b32 v46, 6, v38
	v_dual_mov_b32 v10, v1 :: v_dual_mov_b32 v11, v1
	v_mov_b32_e32 v61, v1
	s_delay_alu instid0(VALU_DEP_3)
	v_add_nc_u64_e32 v[48:49], src_flat_scratch_base_lo, v[6:7]
	s_cselect_b32 s25, -1, 0
	s_cmp_lg_u64 s[10:11], 0
	s_mov_b32 s27, s4
	s_cselect_b32 s26, -1, 0
	s_branch .LBB5_3
.LBB5_2:                                ;   in Loop: Header=BB5_3 Depth=1
	s_or_b32 exec_lo, exec_lo, s16
	v_add3_u32 v0, v61, v50, v52
	s_add_co_i32 s27, s27, 1
	s_delay_alu instid0(SALU_CYCLE_1) | instskip(SKIP_1) | instid1(VALU_DEP_1)
	s_cmp_eq_u32 s27, s24
	s_wait_loadcnt 0x0
	v_add3_u32 v61, v0, v54, v6
	s_cbranch_scc1 .LBB5_1068
.LBB5_3:                                ; =>This Loop Header: Depth=1
                                        ;     Child Loop BB5_6 Depth 2
                                        ;     Child Loop BB5_14 Depth 2
                                        ;     Child Loop BB5_23 Depth 2
                                        ;     Child Loop BB5_28 Depth 2
                                        ;     Child Loop BB5_191 Depth 2
                                        ;     Child Loop BB5_199 Depth 2
                                        ;     Child Loop BB5_208 Depth 2
                                        ;     Child Loop BB5_213 Depth 2
                                        ;     Child Loop BB5_32 Depth 2
                                        ;       Child Loop BB5_35 Depth 3
                                        ;       Child Loop BB5_42 Depth 3
                                        ;       Child Loop BB5_49 Depth 3
                                        ;       Child Loop BB5_56 Depth 3
                                        ;       Child Loop BB5_63 Depth 3
                                        ;       Child Loop BB5_70 Depth 3
                                        ;       Child Loop BB5_77 Depth 3
                                        ;       Child Loop BB5_84 Depth 3
                                        ;       Child Loop BB5_92 Depth 3
                                        ;       Child Loop BB5_101 Depth 3
                                        ;       Child Loop BB5_106 Depth 3
                                        ;     Child Loop BB5_219 Depth 2
                                        ;     Child Loop BB5_227 Depth 2
                                        ;     Child Loop BB5_236 Depth 2
                                        ;     Child Loop BB5_241 Depth 2
                                        ;     Child Loop BB5_111 Depth 2
                                        ;       Child Loop BB5_114 Depth 3
                                        ;       Child Loop BB5_121 Depth 3
                                        ;       Child Loop BB5_128 Depth 3
                                        ;       Child Loop BB5_135 Depth 3
                                        ;       Child Loop BB5_142 Depth 3
                                        ;       Child Loop BB5_149 Depth 3
                                        ;       Child Loop BB5_156 Depth 3
                                        ;       Child Loop BB5_163 Depth 3
                                        ;       Child Loop BB5_171 Depth 3
                                        ;       Child Loop BB5_180 Depth 3
                                        ;       Child Loop BB5_185 Depth 3
                                        ;     Child Loop BB5_246 Depth 2
                                        ;     Child Loop BB5_254 Depth 2
                                        ;     Child Loop BB5_263 Depth 2
                                        ;     Child Loop BB5_268 Depth 2
                                        ;     Child Loop BB5_272 Depth 2
                                        ;     Child Loop BB5_280 Depth 2
                                        ;     Child Loop BB5_289 Depth 2
                                        ;     Child Loop BB5_294 Depth 2
                                        ;     Child Loop BB5_457 Depth 2
                                        ;     Child Loop BB5_465 Depth 2
                                        ;     Child Loop BB5_474 Depth 2
                                        ;     Child Loop BB5_479 Depth 2
                                        ;     Child Loop BB5_298 Depth 2
                                        ;       Child Loop BB5_301 Depth 3
                                        ;       Child Loop BB5_308 Depth 3
                                        ;       Child Loop BB5_315 Depth 3
                                        ;       Child Loop BB5_322 Depth 3
                                        ;       Child Loop BB5_329 Depth 3
                                        ;       Child Loop BB5_336 Depth 3
                                        ;       Child Loop BB5_343 Depth 3
                                        ;       Child Loop BB5_350 Depth 3
                                        ;       Child Loop BB5_358 Depth 3
                                        ;       Child Loop BB5_367 Depth 3
                                        ;       Child Loop BB5_372 Depth 3
                                        ;     Child Loop BB5_485 Depth 2
                                        ;     Child Loop BB5_493 Depth 2
                                        ;     Child Loop BB5_502 Depth 2
                                        ;     Child Loop BB5_507 Depth 2
                                        ;     Child Loop BB5_377 Depth 2
                                        ;       Child Loop BB5_380 Depth 3
                                        ;       Child Loop BB5_387 Depth 3
                                        ;       Child Loop BB5_394 Depth 3
                                        ;       Child Loop BB5_401 Depth 3
                                        ;       Child Loop BB5_408 Depth 3
                                        ;       Child Loop BB5_415 Depth 3
                                        ;       Child Loop BB5_422 Depth 3
                                        ;       Child Loop BB5_429 Depth 3
                                        ;       Child Loop BB5_437 Depth 3
                                        ;       Child Loop BB5_446 Depth 3
                                        ;       Child Loop BB5_451 Depth 3
                                        ;     Child Loop BB5_512 Depth 2
                                        ;     Child Loop BB5_520 Depth 2
                                        ;     Child Loop BB5_529 Depth 2
                                        ;     Child Loop BB5_534 Depth 2
	;; [unrolled: 40-line block ×4, first 2 shown]
	v_mov_b32_e32 v0, s27
	scratch_store_b32 off, v39, off
	v_readfirstlane_b32 s2, v38
	v_mov_b64_e32 v[6:7], 0
	s_wait_xcnt 0x0
	flat_atomic_add_u32 v[40:41], v0 scope:SCOPE_DEV
	scratch_load_b32 v5, off, off
	v_cmp_eq_u32_e64 s2, s2, v38
	s_wait_xcnt 0x0
	s_and_saveexec_b32 s3, s2
	s_cbranch_execz .LBB5_9
; %bb.4:                                ;   in Loop: Header=BB5_3 Depth=1
	s_wait_kmcnt 0x0
	global_load_b64 v[18:19], v1, s[12:13] offset:24 scope:SCOPE_SYS
	s_wait_loadcnt 0x0
	global_inv scope:SCOPE_SYS
	s_clause 0x1
	global_load_b64 v[6:7], v1, s[12:13] offset:40
	global_load_b64 v[16:17], v1, s[12:13]
	s_mov_b32 s14, exec_lo
	s_wait_loadcnt 0x1
	v_and_b32_e32 v6, v6, v18
	v_and_b32_e32 v7, v7, v19
	s_delay_alu instid0(VALU_DEP_1) | instskip(SKIP_1) | instid1(VALU_DEP_1)
	v_mul_u64_e32 v[6:7], 24, v[6:7]
	s_wait_loadcnt 0x0
	v_add_nc_u64_e32 v[6:7], v[16:17], v[6:7]
	global_load_b64 v[16:17], v[6:7], off scope:SCOPE_SYS
	s_wait_xcnt 0x0
	s_wait_loadcnt 0x0
	global_atomic_cmpswap_b64 v[6:7], v1, v[16:19], s[12:13] offset:24 th:TH_ATOMIC_RETURN scope:SCOPE_SYS
	s_wait_loadcnt 0x0
	global_inv scope:SCOPE_SYS
	s_wait_xcnt 0x0
	v_cmpx_ne_u64_e64 v[6:7], v[18:19]
	s_cbranch_execz .LBB5_8
; %bb.5:                                ;   in Loop: Header=BB5_3 Depth=1
	s_mov_b32 s15, 0
.LBB5_6:                                ;   Parent Loop BB5_3 Depth=1
                                        ; =>  This Inner Loop Header: Depth=2
	s_sleep 1
	s_clause 0x1
	global_load_b64 v[16:17], v1, s[12:13] offset:40
	global_load_b64 v[20:21], v1, s[12:13]
	v_mov_b64_e32 v[18:19], v[6:7]
	s_wait_loadcnt 0x1
	s_delay_alu instid0(VALU_DEP_1) | instskip(SKIP_1) | instid1(VALU_DEP_1)
	v_and_b32_e32 v0, v16, v18
	s_wait_loadcnt 0x0
	v_mad_nc_u64_u32 v[6:7], v0, 24, v[20:21]
	s_delay_alu instid0(VALU_DEP_3) | instskip(NEXT) | instid1(VALU_DEP_1)
	v_and_b32_e32 v0, v17, v19
	v_mad_u32 v7, v0, 24, v7
	global_load_b64 v[16:17], v[6:7], off scope:SCOPE_SYS
	s_wait_xcnt 0x0
	s_wait_loadcnt 0x0
	global_atomic_cmpswap_b64 v[6:7], v1, v[16:19], s[12:13] offset:24 th:TH_ATOMIC_RETURN scope:SCOPE_SYS
	s_wait_loadcnt 0x0
	global_inv scope:SCOPE_SYS
	v_cmp_eq_u64_e32 vcc_lo, v[6:7], v[18:19]
	s_or_b32 s15, vcc_lo, s15
	s_wait_xcnt 0x0
	s_and_not1_b32 exec_lo, exec_lo, s15
	s_cbranch_execnz .LBB5_6
; %bb.7:                                ;   in Loop: Header=BB5_3 Depth=1
	s_or_b32 exec_lo, exec_lo, s15
.LBB5_8:                                ;   in Loop: Header=BB5_3 Depth=1
	s_delay_alu instid0(SALU_CYCLE_1)
	s_or_b32 exec_lo, exec_lo, s14
.LBB5_9:                                ;   in Loop: Header=BB5_3 Depth=1
	s_delay_alu instid0(SALU_CYCLE_1)
	s_or_b32 exec_lo, exec_lo, s3
	s_wait_kmcnt 0x0
	s_clause 0x1
	global_load_b64 v[20:21], v1, s[12:13] offset:40
	global_load_b128 v[16:19], v1, s[12:13]
	v_readfirstlane_b32 s14, v6
	v_readfirstlane_b32 s15, v7
	s_mov_b32 s3, exec_lo
	s_wait_loadcnt 0x1
	v_and_b32_e32 v20, s14, v20
	v_and_b32_e32 v21, s15, v21
	s_delay_alu instid0(VALU_DEP_1) | instskip(SKIP_1) | instid1(VALU_DEP_1)
	v_mul_u64_e32 v[6:7], 24, v[20:21]
	s_wait_loadcnt 0x0
	v_add_nc_u64_e32 v[6:7], v[16:17], v[6:7]
	s_wait_xcnt 0x0
	s_and_saveexec_b32 s16, s2
	s_cbranch_execz .LBB5_11
; %bb.10:                               ;   in Loop: Header=BB5_3 Depth=1
	v_mov_b32_e32 v0, s3
	global_store_b128 v[6:7], v[0:3], off offset:8
.LBB5_11:                               ;   in Loop: Header=BB5_3 Depth=1
	s_wait_xcnt 0x0
	s_or_b32 exec_lo, exec_lo, s16
	v_lshlrev_b64_e32 v[20:21], 12, v[20:21]
	s_delay_alu instid0(VALU_DEP_1) | instskip(NEXT) | instid1(VALU_DEP_1)
	v_add_nc_u64_e32 v[20:21], v[18:19], v[20:21]
	v_readfirstlane_b32 s16, v20
	s_delay_alu instid0(VALU_DEP_2)
	v_readfirstlane_b32 s17, v21
	s_clause 0x3
	global_store_b128 v46, v[8:11], s[16:17]
	global_store_b128 v46, v[12:15], s[16:17] offset:16
	global_store_b128 v46, v[12:15], s[16:17] offset:32
	;; [unrolled: 1-line block ×3, first 2 shown]
	s_wait_xcnt 0x0
	s_and_saveexec_b32 s3, s2
	s_cbranch_execz .LBB5_19
; %bb.12:                               ;   in Loop: Header=BB5_3 Depth=1
	s_clause 0x1
	global_load_b64 v[26:27], v1, s[12:13] offset:32 scope:SCOPE_SYS
	global_load_b64 v[18:19], v1, s[12:13] offset:40
	s_mov_b32 s16, exec_lo
	v_dual_mov_b32 v24, s14 :: v_dual_mov_b32 v25, s15
	s_wait_loadcnt 0x0
	v_and_b32_e32 v19, s15, v19
	v_and_b32_e32 v18, s14, v18
	s_delay_alu instid0(VALU_DEP_1) | instskip(NEXT) | instid1(VALU_DEP_1)
	v_mul_u64_e32 v[18:19], 24, v[18:19]
	v_add_nc_u64_e32 v[22:23], v[16:17], v[18:19]
	global_store_b64 v[22:23], v[26:27], off
	global_wb scope:SCOPE_SYS
	s_wait_storecnt 0x0
	s_wait_xcnt 0x0
	global_atomic_cmpswap_b64 v[18:19], v1, v[24:27], s[12:13] offset:32 th:TH_ATOMIC_RETURN scope:SCOPE_SYS
	s_wait_loadcnt 0x0
	s_wait_xcnt 0x0
	v_cmpx_ne_u64_e64 v[18:19], v[26:27]
	s_cbranch_execz .LBB5_15
; %bb.13:                               ;   in Loop: Header=BB5_3 Depth=1
	s_mov_b32 s17, 0
.LBB5_14:                               ;   Parent Loop BB5_3 Depth=1
                                        ; =>  This Inner Loop Header: Depth=2
	v_dual_mov_b32 v16, s14 :: v_dual_mov_b32 v17, s15
	s_sleep 1
	global_store_b64 v[22:23], v[18:19], off
	global_wb scope:SCOPE_SYS
	s_wait_storecnt 0x0
	s_wait_xcnt 0x0
	global_atomic_cmpswap_b64 v[16:17], v1, v[16:19], s[12:13] offset:32 th:TH_ATOMIC_RETURN scope:SCOPE_SYS
	s_wait_loadcnt 0x0
	v_cmp_eq_u64_e32 vcc_lo, v[16:17], v[18:19]
	s_wait_xcnt 0x0
	v_mov_b64_e32 v[18:19], v[16:17]
	s_or_b32 s17, vcc_lo, s17
	s_delay_alu instid0(SALU_CYCLE_1)
	s_and_not1_b32 exec_lo, exec_lo, s17
	s_cbranch_execnz .LBB5_14
.LBB5_15:                               ;   in Loop: Header=BB5_3 Depth=1
	s_or_b32 exec_lo, exec_lo, s16
	global_load_b64 v[16:17], v1, s[12:13] offset:16
	s_mov_b32 s17, exec_lo
	s_mov_b32 s16, exec_lo
	v_mbcnt_lo_u32_b32 v0, s17, 0
	s_wait_xcnt 0x0
	s_delay_alu instid0(VALU_DEP_1)
	v_cmpx_eq_u32_e32 0, v0
	s_cbranch_execz .LBB5_17
; %bb.16:                               ;   in Loop: Header=BB5_3 Depth=1
	s_bcnt1_i32_b32 s17, s17
	s_delay_alu instid0(SALU_CYCLE_1)
	v_mov_b32_e32 v0, s17
	global_wb scope:SCOPE_SYS
	s_wait_loadcnt 0x0
	s_wait_storecnt 0x0
	global_atomic_add_u64 v[16:17], v[0:1], off offset:8 scope:SCOPE_SYS
.LBB5_17:                               ;   in Loop: Header=BB5_3 Depth=1
	s_wait_xcnt 0x0
	s_or_b32 exec_lo, exec_lo, s16
	s_wait_loadcnt 0x0
	global_load_b64 v[18:19], v[16:17], off offset:16
	s_wait_loadcnt 0x0
	v_cmp_eq_u64_e32 vcc_lo, 0, v[18:19]
	s_cbranch_vccnz .LBB5_19
; %bb.18:                               ;   in Loop: Header=BB5_3 Depth=1
	global_load_b32 v0, v[16:17], off offset:24
	s_wait_loadcnt 0x0
	v_readfirstlane_b32 s16, v0
	global_wb scope:SCOPE_SYS
	s_wait_storecnt 0x0
	s_wait_xcnt 0x0
	global_store_b64 v[18:19], v[0:1], off scope:SCOPE_SYS
	s_and_b32 m0, s16, 0xffffff
	s_sendmsg sendmsg(MSG_INTERRUPT)
.LBB5_19:                               ;   in Loop: Header=BB5_3 Depth=1
	s_wait_xcnt 0x0
	s_or_b32 exec_lo, exec_lo, s3
	v_mov_b32_e32 v47, v1
	s_delay_alu instid0(VALU_DEP_1)
	v_add_nc_u64_e32 v[16:17], v[20:21], v[46:47]
	s_branch .LBB5_23
.LBB5_20:                               ;   in Loop: Header=BB5_23 Depth=2
	s_wait_xcnt 0x0
	s_or_b32 exec_lo, exec_lo, s3
	s_delay_alu instid0(VALU_DEP_1)
	v_readfirstlane_b32 s3, v0
	s_cmp_eq_u32 s3, 0
	s_cbranch_scc1 .LBB5_22
; %bb.21:                               ;   in Loop: Header=BB5_23 Depth=2
	s_sleep 1
	s_cbranch_execnz .LBB5_23
	s_branch .LBB5_25
.LBB5_22:                               ;   in Loop: Header=BB5_3 Depth=1
	s_branch .LBB5_25
.LBB5_23:                               ;   Parent Loop BB5_3 Depth=1
                                        ; =>  This Inner Loop Header: Depth=2
	v_mov_b32_e32 v0, 1
	s_and_saveexec_b32 s3, s2
	s_cbranch_execz .LBB5_20
; %bb.24:                               ;   in Loop: Header=BB5_23 Depth=2
	global_load_b32 v0, v[6:7], off offset:20 scope:SCOPE_SYS
	s_wait_loadcnt 0x0
	global_inv scope:SCOPE_SYS
	v_and_b32_e32 v0, 1, v0
	s_branch .LBB5_20
.LBB5_25:                               ;   in Loop: Header=BB5_3 Depth=1
	global_load_b64 v[20:21], v[16:17], off
	s_wait_xcnt 0x0
	s_and_saveexec_b32 s16, s2
	s_cbranch_execz .LBB5_29
; %bb.26:                               ;   in Loop: Header=BB5_3 Depth=1
	s_clause 0x2
	global_load_b64 v[6:7], v1, s[12:13] offset:40
	global_load_b64 v[24:25], v1, s[12:13] offset:24 scope:SCOPE_SYS
	global_load_b64 v[16:17], v1, s[12:13]
	s_wait_loadcnt 0x2
	v_readfirstlane_b32 s18, v6
	v_readfirstlane_b32 s19, v7
	s_add_nc_u64 s[2:3], s[18:19], 1
	s_delay_alu instid0(SALU_CYCLE_1) | instskip(NEXT) | instid1(SALU_CYCLE_1)
	s_add_nc_u64 s[14:15], s[2:3], s[14:15]
	s_cmp_eq_u64 s[14:15], 0
	s_cselect_b32 s3, s3, s15
	s_cselect_b32 s2, s2, s14
	s_delay_alu instid0(SALU_CYCLE_1) | instskip(SKIP_1) | instid1(SALU_CYCLE_1)
	v_dual_mov_b32 v23, s3 :: v_dual_mov_b32 v22, s2
	s_and_b64 s[14:15], s[2:3], s[18:19]
	s_mul_u64 s[14:15], s[14:15], 24
	s_wait_loadcnt 0x0
	v_add_nc_u64_e32 v[6:7], s[14:15], v[16:17]
	global_store_b64 v[6:7], v[24:25], off
	global_wb scope:SCOPE_SYS
	s_wait_storecnt 0x0
	s_wait_xcnt 0x0
	global_atomic_cmpswap_b64 v[18:19], v1, v[22:25], s[12:13] offset:24 th:TH_ATOMIC_RETURN scope:SCOPE_SYS
	s_wait_loadcnt 0x0
	v_cmp_ne_u64_e32 vcc_lo, v[18:19], v[24:25]
	s_wait_xcnt 0x0
	s_and_b32 exec_lo, exec_lo, vcc_lo
	s_cbranch_execz .LBB5_29
; %bb.27:                               ;   in Loop: Header=BB5_3 Depth=1
	s_mov_b32 s14, 0
.LBB5_28:                               ;   Parent Loop BB5_3 Depth=1
                                        ; =>  This Inner Loop Header: Depth=2
	v_dual_mov_b32 v16, s2 :: v_dual_mov_b32 v17, s3
	s_sleep 1
	global_store_b64 v[6:7], v[18:19], off
	global_wb scope:SCOPE_SYS
	s_wait_storecnt 0x0
	s_wait_xcnt 0x0
	global_atomic_cmpswap_b64 v[16:17], v1, v[16:19], s[12:13] offset:24 th:TH_ATOMIC_RETURN scope:SCOPE_SYS
	s_wait_loadcnt 0x0
	v_cmp_eq_u64_e32 vcc_lo, v[16:17], v[18:19]
	s_wait_xcnt 0x0
	v_mov_b64_e32 v[18:19], v[16:17]
	s_or_b32 s14, vcc_lo, s14
	s_delay_alu instid0(SALU_CYCLE_1)
	s_and_not1_b32 exec_lo, exec_lo, s14
	s_cbranch_execnz .LBB5_28
.LBB5_29:                               ;   in Loop: Header=BB5_3 Depth=1
	s_or_b32 exec_lo, exec_lo, s16
	s_delay_alu instid0(SALU_CYCLE_1)
	s_and_b32 vcc_lo, exec_lo, s25
	s_cbranch_vccz .LBB5_187
; %bb.30:                               ;   in Loop: Header=BB5_3 Depth=1
	s_wait_loadcnt 0x0
	v_dual_mov_b32 v17, v21 :: v_dual_bitop2_b32 v6, 2, v20 bitop3:0x40
	v_and_b32_e32 v16, -3, v20
	s_mov_b64 s[14:15], 6
	s_mov_b64 s[16:17], s[8:9]
	s_branch .LBB5_32
.LBB5_31:                               ;   in Loop: Header=BB5_32 Depth=2
	s_or_b32 exec_lo, exec_lo, s22
	s_sub_nc_u64 s[14:15], s[14:15], s[18:19]
	s_add_nc_u64 s[16:17], s[16:17], s[18:19]
	s_cmp_lg_u64 s[14:15], 0
	s_cbranch_scc0 .LBB5_107
.LBB5_32:                               ;   Parent Loop BB5_3 Depth=1
                                        ; =>  This Loop Header: Depth=2
                                        ;       Child Loop BB5_35 Depth 3
                                        ;       Child Loop BB5_42 Depth 3
	;; [unrolled: 1-line block ×11, first 2 shown]
	v_min_u64 v[18:19], s[14:15], 56
	v_cmp_gt_u64_e64 s2, s[14:15], 7
	s_and_b32 vcc_lo, exec_lo, s2
	v_readfirstlane_b32 s18, v18
	v_readfirstlane_b32 s19, v19
	s_cbranch_vccnz .LBB5_37
; %bb.33:                               ;   in Loop: Header=BB5_32 Depth=2
	v_mov_b64_e32 v[18:19], 0
	s_cmp_eq_u64 s[14:15], 0
	s_cbranch_scc1 .LBB5_36
; %bb.34:                               ;   in Loop: Header=BB5_32 Depth=2
	s_mov_b64 s[2:3], 0
	s_mov_b64 s[20:21], 0
.LBB5_35:                               ;   Parent Loop BB5_3 Depth=1
                                        ;     Parent Loop BB5_32 Depth=2
                                        ; =>    This Inner Loop Header: Depth=3
	s_wait_xcnt 0x0
	s_add_nc_u64 s[22:23], s[16:17], s[20:21]
	s_add_nc_u64 s[20:21], s[20:21], 1
	global_load_u8 v0, v1, s[22:23]
	s_cmp_lg_u32 s18, s20
	s_wait_loadcnt 0x0
	v_and_b32_e32 v0, 0xffff, v0
	s_delay_alu instid0(VALU_DEP_1) | instskip(SKIP_1) | instid1(VALU_DEP_1)
	v_lshlrev_b64_e32 v[22:23], s2, v[0:1]
	s_add_nc_u64 s[2:3], s[2:3], 8
	v_or_b32_e32 v18, v22, v18
	s_delay_alu instid0(VALU_DEP_2)
	v_or_b32_e32 v19, v23, v19
	s_cbranch_scc1 .LBB5_35
.LBB5_36:                               ;   in Loop: Header=BB5_32 Depth=2
	s_mov_b64 s[2:3], s[16:17]
	s_mov_b32 s28, 0
	s_cbranch_execz .LBB5_38
	s_branch .LBB5_39
.LBB5_37:                               ;   in Loop: Header=BB5_32 Depth=2
	s_add_nc_u64 s[2:3], s[16:17], 8
	s_mov_b32 s28, 0
.LBB5_38:                               ;   in Loop: Header=BB5_32 Depth=2
	global_load_b64 v[18:19], v1, s[16:17]
	s_add_co_i32 s28, s18, -8
.LBB5_39:                               ;   in Loop: Header=BB5_32 Depth=2
	s_delay_alu instid0(SALU_CYCLE_1)
	s_cmp_gt_u32 s28, 7
	s_cbranch_scc1 .LBB5_44
; %bb.40:                               ;   in Loop: Header=BB5_32 Depth=2
	v_mov_b64_e32 v[22:23], 0
	s_cmp_eq_u32 s28, 0
	s_cbranch_scc1 .LBB5_43
; %bb.41:                               ;   in Loop: Header=BB5_32 Depth=2
	s_mov_b64 s[20:21], 0
	s_wait_xcnt 0x0
	s_mov_b64 s[22:23], 0
.LBB5_42:                               ;   Parent Loop BB5_3 Depth=1
                                        ;     Parent Loop BB5_32 Depth=2
                                        ; =>    This Inner Loop Header: Depth=3
	s_wait_xcnt 0x0
	s_add_nc_u64 s[30:31], s[2:3], s[22:23]
	s_add_nc_u64 s[22:23], s[22:23], 1
	global_load_u8 v0, v1, s[30:31]
	s_cmp_lg_u32 s28, s22
	s_wait_loadcnt 0x0
	v_and_b32_e32 v0, 0xffff, v0
	s_delay_alu instid0(VALU_DEP_1) | instskip(SKIP_1) | instid1(VALU_DEP_1)
	v_lshlrev_b64_e32 v[24:25], s20, v[0:1]
	s_add_nc_u64 s[20:21], s[20:21], 8
	v_or_b32_e32 v22, v24, v22
	s_delay_alu instid0(VALU_DEP_2)
	v_or_b32_e32 v23, v25, v23
	s_cbranch_scc1 .LBB5_42
.LBB5_43:                               ;   in Loop: Header=BB5_32 Depth=2
	s_wait_xcnt 0x0
	s_mov_b64 s[20:21], s[2:3]
	s_mov_b32 s29, 0
	s_cbranch_execz .LBB5_45
	s_branch .LBB5_46
.LBB5_44:                               ;   in Loop: Header=BB5_32 Depth=2
	s_add_nc_u64 s[20:21], s[2:3], 8
	s_wait_xcnt 0x0
                                        ; implicit-def: $vgpr22_vgpr23
	s_mov_b32 s29, 0
.LBB5_45:                               ;   in Loop: Header=BB5_32 Depth=2
	global_load_b64 v[22:23], v1, s[2:3]
	s_add_co_i32 s29, s28, -8
.LBB5_46:                               ;   in Loop: Header=BB5_32 Depth=2
	s_delay_alu instid0(SALU_CYCLE_1)
	s_cmp_gt_u32 s29, 7
	s_cbranch_scc1 .LBB5_51
; %bb.47:                               ;   in Loop: Header=BB5_32 Depth=2
	v_mov_b64_e32 v[24:25], 0
	s_cmp_eq_u32 s29, 0
	s_cbranch_scc1 .LBB5_50
; %bb.48:                               ;   in Loop: Header=BB5_32 Depth=2
	s_wait_xcnt 0x0
	s_mov_b64 s[2:3], 0
	s_mov_b64 s[22:23], 0
.LBB5_49:                               ;   Parent Loop BB5_3 Depth=1
                                        ;     Parent Loop BB5_32 Depth=2
                                        ; =>    This Inner Loop Header: Depth=3
	s_wait_xcnt 0x0
	s_add_nc_u64 s[30:31], s[20:21], s[22:23]
	s_add_nc_u64 s[22:23], s[22:23], 1
	global_load_u8 v0, v1, s[30:31]
	s_cmp_lg_u32 s29, s22
	s_wait_loadcnt 0x0
	v_and_b32_e32 v0, 0xffff, v0
	s_delay_alu instid0(VALU_DEP_1) | instskip(SKIP_1) | instid1(VALU_DEP_1)
	v_lshlrev_b64_e32 v[26:27], s2, v[0:1]
	s_add_nc_u64 s[2:3], s[2:3], 8
	v_or_b32_e32 v24, v26, v24
	s_delay_alu instid0(VALU_DEP_2)
	v_or_b32_e32 v25, v27, v25
	s_cbranch_scc1 .LBB5_49
.LBB5_50:                               ;   in Loop: Header=BB5_32 Depth=2
	s_wait_xcnt 0x0
	s_mov_b64 s[2:3], s[20:21]
	s_mov_b32 s28, 0
	s_cbranch_execz .LBB5_52
	s_branch .LBB5_53
.LBB5_51:                               ;   in Loop: Header=BB5_32 Depth=2
	s_wait_xcnt 0x0
	s_add_nc_u64 s[2:3], s[20:21], 8
	s_mov_b32 s28, 0
.LBB5_52:                               ;   in Loop: Header=BB5_32 Depth=2
	global_load_b64 v[24:25], v1, s[20:21]
	s_add_co_i32 s28, s29, -8
.LBB5_53:                               ;   in Loop: Header=BB5_32 Depth=2
	s_delay_alu instid0(SALU_CYCLE_1)
	s_cmp_gt_u32 s28, 7
	s_cbranch_scc1 .LBB5_58
; %bb.54:                               ;   in Loop: Header=BB5_32 Depth=2
	v_mov_b64_e32 v[26:27], 0
	s_cmp_eq_u32 s28, 0
	s_cbranch_scc1 .LBB5_57
; %bb.55:                               ;   in Loop: Header=BB5_32 Depth=2
	s_wait_xcnt 0x0
	s_mov_b64 s[20:21], 0
	s_mov_b64 s[22:23], 0
.LBB5_56:                               ;   Parent Loop BB5_3 Depth=1
                                        ;     Parent Loop BB5_32 Depth=2
                                        ; =>    This Inner Loop Header: Depth=3
	s_wait_xcnt 0x0
	s_add_nc_u64 s[30:31], s[2:3], s[22:23]
	s_add_nc_u64 s[22:23], s[22:23], 1
	global_load_u8 v0, v1, s[30:31]
	s_cmp_lg_u32 s28, s22
	s_wait_loadcnt 0x0
	v_and_b32_e32 v0, 0xffff, v0
	s_delay_alu instid0(VALU_DEP_1) | instskip(SKIP_1) | instid1(VALU_DEP_1)
	v_lshlrev_b64_e32 v[28:29], s20, v[0:1]
	s_add_nc_u64 s[20:21], s[20:21], 8
	v_or_b32_e32 v26, v28, v26
	s_delay_alu instid0(VALU_DEP_2)
	v_or_b32_e32 v27, v29, v27
	s_cbranch_scc1 .LBB5_56
.LBB5_57:                               ;   in Loop: Header=BB5_32 Depth=2
	s_wait_xcnt 0x0
	s_mov_b64 s[20:21], s[2:3]
	s_mov_b32 s29, 0
	s_cbranch_execz .LBB5_59
	s_branch .LBB5_60
.LBB5_58:                               ;   in Loop: Header=BB5_32 Depth=2
	s_wait_xcnt 0x0
	s_add_nc_u64 s[20:21], s[2:3], 8
                                        ; implicit-def: $vgpr26_vgpr27
	s_mov_b32 s29, 0
.LBB5_59:                               ;   in Loop: Header=BB5_32 Depth=2
	global_load_b64 v[26:27], v1, s[2:3]
	s_add_co_i32 s29, s28, -8
.LBB5_60:                               ;   in Loop: Header=BB5_32 Depth=2
	s_delay_alu instid0(SALU_CYCLE_1)
	s_cmp_gt_u32 s29, 7
	s_cbranch_scc1 .LBB5_65
; %bb.61:                               ;   in Loop: Header=BB5_32 Depth=2
	v_mov_b64_e32 v[28:29], 0
	s_cmp_eq_u32 s29, 0
	s_cbranch_scc1 .LBB5_64
; %bb.62:                               ;   in Loop: Header=BB5_32 Depth=2
	s_wait_xcnt 0x0
	s_mov_b64 s[2:3], 0
	s_mov_b64 s[22:23], 0
.LBB5_63:                               ;   Parent Loop BB5_3 Depth=1
                                        ;     Parent Loop BB5_32 Depth=2
                                        ; =>    This Inner Loop Header: Depth=3
	s_wait_xcnt 0x0
	s_add_nc_u64 s[30:31], s[20:21], s[22:23]
	s_add_nc_u64 s[22:23], s[22:23], 1
	global_load_u8 v0, v1, s[30:31]
	s_cmp_lg_u32 s29, s22
	s_wait_loadcnt 0x0
	v_and_b32_e32 v0, 0xffff, v0
	s_delay_alu instid0(VALU_DEP_1) | instskip(SKIP_1) | instid1(VALU_DEP_1)
	v_lshlrev_b64_e32 v[30:31], s2, v[0:1]
	s_add_nc_u64 s[2:3], s[2:3], 8
	v_or_b32_e32 v28, v30, v28
	s_delay_alu instid0(VALU_DEP_2)
	v_or_b32_e32 v29, v31, v29
	s_cbranch_scc1 .LBB5_63
.LBB5_64:                               ;   in Loop: Header=BB5_32 Depth=2
	s_wait_xcnt 0x0
	s_mov_b64 s[2:3], s[20:21]
	s_mov_b32 s28, 0
	s_cbranch_execz .LBB5_66
	s_branch .LBB5_67
.LBB5_65:                               ;   in Loop: Header=BB5_32 Depth=2
	s_wait_xcnt 0x0
	s_add_nc_u64 s[2:3], s[20:21], 8
	s_mov_b32 s28, 0
.LBB5_66:                               ;   in Loop: Header=BB5_32 Depth=2
	global_load_b64 v[28:29], v1, s[20:21]
	s_add_co_i32 s28, s29, -8
.LBB5_67:                               ;   in Loop: Header=BB5_32 Depth=2
	s_delay_alu instid0(SALU_CYCLE_1)
	s_cmp_gt_u32 s28, 7
	s_cbranch_scc1 .LBB5_72
; %bb.68:                               ;   in Loop: Header=BB5_32 Depth=2
	v_mov_b64_e32 v[30:31], 0
	s_cmp_eq_u32 s28, 0
	s_cbranch_scc1 .LBB5_71
; %bb.69:                               ;   in Loop: Header=BB5_32 Depth=2
	s_wait_xcnt 0x0
	s_mov_b64 s[20:21], 0
	s_mov_b64 s[22:23], 0
.LBB5_70:                               ;   Parent Loop BB5_3 Depth=1
                                        ;     Parent Loop BB5_32 Depth=2
                                        ; =>    This Inner Loop Header: Depth=3
	s_wait_xcnt 0x0
	s_add_nc_u64 s[30:31], s[2:3], s[22:23]
	s_add_nc_u64 s[22:23], s[22:23], 1
	global_load_u8 v0, v1, s[30:31]
	s_cmp_lg_u32 s28, s22
	s_wait_loadcnt 0x0
	v_and_b32_e32 v0, 0xffff, v0
	s_delay_alu instid0(VALU_DEP_1) | instskip(SKIP_1) | instid1(VALU_DEP_1)
	v_lshlrev_b64_e32 v[32:33], s20, v[0:1]
	s_add_nc_u64 s[20:21], s[20:21], 8
	v_or_b32_e32 v30, v32, v30
	s_delay_alu instid0(VALU_DEP_2)
	v_or_b32_e32 v31, v33, v31
	s_cbranch_scc1 .LBB5_70
.LBB5_71:                               ;   in Loop: Header=BB5_32 Depth=2
	s_wait_xcnt 0x0
	s_mov_b64 s[20:21], s[2:3]
	s_mov_b32 s29, 0
	s_cbranch_execz .LBB5_73
	s_branch .LBB5_74
.LBB5_72:                               ;   in Loop: Header=BB5_32 Depth=2
	s_wait_xcnt 0x0
	s_add_nc_u64 s[20:21], s[2:3], 8
                                        ; implicit-def: $vgpr30_vgpr31
	s_mov_b32 s29, 0
.LBB5_73:                               ;   in Loop: Header=BB5_32 Depth=2
	global_load_b64 v[30:31], v1, s[2:3]
	s_add_co_i32 s29, s28, -8
.LBB5_74:                               ;   in Loop: Header=BB5_32 Depth=2
	s_delay_alu instid0(SALU_CYCLE_1)
	s_cmp_gt_u32 s29, 7
	s_cbranch_scc1 .LBB5_79
; %bb.75:                               ;   in Loop: Header=BB5_32 Depth=2
	v_mov_b64_e32 v[32:33], 0
	s_cmp_eq_u32 s29, 0
	s_cbranch_scc1 .LBB5_78
; %bb.76:                               ;   in Loop: Header=BB5_32 Depth=2
	s_wait_xcnt 0x0
	s_mov_b64 s[2:3], 0
	s_mov_b64 s[22:23], s[20:21]
.LBB5_77:                               ;   Parent Loop BB5_3 Depth=1
                                        ;     Parent Loop BB5_32 Depth=2
                                        ; =>    This Inner Loop Header: Depth=3
	global_load_u8 v0, v1, s[22:23]
	s_add_co_i32 s29, s29, -1
	s_wait_xcnt 0x0
	s_add_nc_u64 s[22:23], s[22:23], 1
	s_cmp_lg_u32 s29, 0
	s_wait_loadcnt 0x0
	v_and_b32_e32 v0, 0xffff, v0
	s_delay_alu instid0(VALU_DEP_1) | instskip(SKIP_1) | instid1(VALU_DEP_1)
	v_lshlrev_b64_e32 v[34:35], s2, v[0:1]
	s_add_nc_u64 s[2:3], s[2:3], 8
	v_or_b32_e32 v32, v34, v32
	s_delay_alu instid0(VALU_DEP_2)
	v_or_b32_e32 v33, v35, v33
	s_cbranch_scc1 .LBB5_77
.LBB5_78:                               ;   in Loop: Header=BB5_32 Depth=2
	s_wait_xcnt 0x0
	s_cbranch_execz .LBB5_80
	s_branch .LBB5_81
.LBB5_79:                               ;   in Loop: Header=BB5_32 Depth=2
	s_wait_xcnt 0x0
.LBB5_80:                               ;   in Loop: Header=BB5_32 Depth=2
	global_load_b64 v[32:33], v1, s[20:21]
.LBB5_81:                               ;   in Loop: Header=BB5_32 Depth=2
	v_readfirstlane_b32 s2, v38
	v_mov_b64_e32 v[50:51], 0
	s_delay_alu instid0(VALU_DEP_2)
	v_cmp_eq_u32_e64 s2, s2, v38
	s_wait_xcnt 0x0
	s_and_saveexec_b32 s3, s2
	s_cbranch_execz .LBB5_87
; %bb.82:                               ;   in Loop: Header=BB5_32 Depth=2
	global_load_b64 v[36:37], v1, s[12:13] offset:24 scope:SCOPE_SYS
	s_wait_loadcnt 0x0
	global_inv scope:SCOPE_SYS
	s_clause 0x1
	global_load_b64 v[34:35], v1, s[12:13] offset:40
	global_load_b64 v[50:51], v1, s[12:13]
	s_mov_b32 s20, exec_lo
	s_wait_loadcnt 0x1
	v_and_b32_e32 v34, v34, v36
	v_and_b32_e32 v35, v35, v37
	s_delay_alu instid0(VALU_DEP_1) | instskip(SKIP_1) | instid1(VALU_DEP_1)
	v_mul_u64_e32 v[34:35], 24, v[34:35]
	s_wait_loadcnt 0x0
	v_add_nc_u64_e32 v[34:35], v[50:51], v[34:35]
	global_load_b64 v[34:35], v[34:35], off scope:SCOPE_SYS
	s_wait_xcnt 0x0
	s_wait_loadcnt 0x0
	global_atomic_cmpswap_b64 v[50:51], v1, v[34:37], s[12:13] offset:24 th:TH_ATOMIC_RETURN scope:SCOPE_SYS
	s_wait_loadcnt 0x0
	global_inv scope:SCOPE_SYS
	s_wait_xcnt 0x0
	v_cmpx_ne_u64_e64 v[50:51], v[36:37]
	s_cbranch_execz .LBB5_86
; %bb.83:                               ;   in Loop: Header=BB5_32 Depth=2
	s_mov_b32 s21, 0
.LBB5_84:                               ;   Parent Loop BB5_3 Depth=1
                                        ;     Parent Loop BB5_32 Depth=2
                                        ; =>    This Inner Loop Header: Depth=3
	s_sleep 1
	s_clause 0x1
	global_load_b64 v[34:35], v1, s[12:13] offset:40
	global_load_b64 v[52:53], v1, s[12:13]
	v_mov_b64_e32 v[36:37], v[50:51]
	s_wait_loadcnt 0x1
	s_delay_alu instid0(VALU_DEP_1) | instskip(SKIP_1) | instid1(VALU_DEP_1)
	v_and_b32_e32 v0, v34, v36
	s_wait_loadcnt 0x0
	v_mad_nc_u64_u32 v[50:51], v0, 24, v[52:53]
	s_delay_alu instid0(VALU_DEP_3) | instskip(NEXT) | instid1(VALU_DEP_1)
	v_and_b32_e32 v0, v35, v37
	v_mad_u32 v51, v0, 24, v51
	global_load_b64 v[34:35], v[50:51], off scope:SCOPE_SYS
	s_wait_xcnt 0x0
	s_wait_loadcnt 0x0
	global_atomic_cmpswap_b64 v[50:51], v1, v[34:37], s[12:13] offset:24 th:TH_ATOMIC_RETURN scope:SCOPE_SYS
	s_wait_loadcnt 0x0
	global_inv scope:SCOPE_SYS
	v_cmp_eq_u64_e32 vcc_lo, v[50:51], v[36:37]
	s_or_b32 s21, vcc_lo, s21
	s_wait_xcnt 0x0
	s_and_not1_b32 exec_lo, exec_lo, s21
	s_cbranch_execnz .LBB5_84
; %bb.85:                               ;   in Loop: Header=BB5_32 Depth=2
	s_or_b32 exec_lo, exec_lo, s21
.LBB5_86:                               ;   in Loop: Header=BB5_32 Depth=2
	s_delay_alu instid0(SALU_CYCLE_1)
	s_or_b32 exec_lo, exec_lo, s20
.LBB5_87:                               ;   in Loop: Header=BB5_32 Depth=2
	s_delay_alu instid0(SALU_CYCLE_1)
	s_or_b32 exec_lo, exec_lo, s3
	s_clause 0x1
	global_load_b64 v[52:53], v1, s[12:13] offset:40
	global_load_b128 v[34:37], v1, s[12:13]
	v_readfirstlane_b32 s20, v50
	v_readfirstlane_b32 s21, v51
	s_mov_b32 s3, exec_lo
	s_wait_loadcnt 0x1
	v_and_b32_e32 v52, s20, v52
	v_and_b32_e32 v53, s21, v53
	s_delay_alu instid0(VALU_DEP_1) | instskip(SKIP_1) | instid1(VALU_DEP_1)
	v_mul_u64_e32 v[50:51], 24, v[52:53]
	s_wait_loadcnt 0x0
	v_add_nc_u64_e32 v[50:51], v[34:35], v[50:51]
	s_wait_xcnt 0x0
	s_and_saveexec_b32 s22, s2
	s_cbranch_execz .LBB5_89
; %bb.88:                               ;   in Loop: Header=BB5_32 Depth=2
	v_mov_b32_e32 v0, s3
	global_store_b128 v[50:51], v[0:3], off offset:8
.LBB5_89:                               ;   in Loop: Header=BB5_32 Depth=2
	s_wait_xcnt 0x0
	s_or_b32 exec_lo, exec_lo, s22
	v_cmp_lt_u64_e64 vcc_lo, s[14:15], 57
	v_lshlrev_b64_e32 v[52:53], 12, v[52:53]
	v_and_b32_e32 v7, 0xffffff1f, v16
	s_lshl_b32 s3, s18, 2
	s_delay_alu instid0(SALU_CYCLE_1) | instskip(SKIP_1) | instid1(VALU_DEP_3)
	s_add_co_i32 s3, s3, 28
	v_cndmask_b32_e32 v0, 0, v6, vcc_lo
	v_add_nc_u64_e32 v[36:37], v[36:37], v[52:53]
	s_delay_alu instid0(VALU_DEP_2) | instskip(NEXT) | instid1(VALU_DEP_2)
	v_or_b32_e32 v0, v7, v0
	v_readfirstlane_b32 s22, v36
	s_delay_alu instid0(VALU_DEP_3) | instskip(NEXT) | instid1(VALU_DEP_3)
	v_readfirstlane_b32 s23, v37
	v_and_or_b32 v16, 0x1e0, s3, v0
	s_clause 0x3
	global_store_b128 v46, v[16:19], s[22:23]
	global_store_b128 v46, v[22:25], s[22:23] offset:16
	global_store_b128 v46, v[26:29], s[22:23] offset:32
	;; [unrolled: 1-line block ×3, first 2 shown]
	s_wait_xcnt 0x0
	s_and_saveexec_b32 s3, s2
	s_cbranch_execz .LBB5_97
; %bb.90:                               ;   in Loop: Header=BB5_32 Depth=2
	s_clause 0x1
	global_load_b64 v[26:27], v1, s[12:13] offset:32 scope:SCOPE_SYS
	global_load_b64 v[16:17], v1, s[12:13] offset:40
	s_mov_b32 s22, exec_lo
	v_dual_mov_b32 v24, s20 :: v_dual_mov_b32 v25, s21
	s_wait_loadcnt 0x0
	v_and_b32_e32 v17, s21, v17
	v_and_b32_e32 v16, s20, v16
	s_delay_alu instid0(VALU_DEP_1) | instskip(NEXT) | instid1(VALU_DEP_1)
	v_mul_u64_e32 v[16:17], 24, v[16:17]
	v_add_nc_u64_e32 v[22:23], v[34:35], v[16:17]
	global_store_b64 v[22:23], v[26:27], off
	global_wb scope:SCOPE_SYS
	s_wait_storecnt 0x0
	s_wait_xcnt 0x0
	global_atomic_cmpswap_b64 v[18:19], v1, v[24:27], s[12:13] offset:32 th:TH_ATOMIC_RETURN scope:SCOPE_SYS
	s_wait_loadcnt 0x0
	s_wait_xcnt 0x0
	v_cmpx_ne_u64_e64 v[18:19], v[26:27]
	s_cbranch_execz .LBB5_93
; %bb.91:                               ;   in Loop: Header=BB5_32 Depth=2
	s_mov_b32 s23, 0
.LBB5_92:                               ;   Parent Loop BB5_3 Depth=1
                                        ;     Parent Loop BB5_32 Depth=2
                                        ; =>    This Inner Loop Header: Depth=3
	v_dual_mov_b32 v16, s20 :: v_dual_mov_b32 v17, s21
	s_sleep 1
	global_store_b64 v[22:23], v[18:19], off
	global_wb scope:SCOPE_SYS
	s_wait_storecnt 0x0
	s_wait_xcnt 0x0
	global_atomic_cmpswap_b64 v[16:17], v1, v[16:19], s[12:13] offset:32 th:TH_ATOMIC_RETURN scope:SCOPE_SYS
	s_wait_loadcnt 0x0
	v_cmp_eq_u64_e32 vcc_lo, v[16:17], v[18:19]
	s_wait_xcnt 0x0
	v_mov_b64_e32 v[18:19], v[16:17]
	s_or_b32 s23, vcc_lo, s23
	s_delay_alu instid0(SALU_CYCLE_1)
	s_and_not1_b32 exec_lo, exec_lo, s23
	s_cbranch_execnz .LBB5_92
.LBB5_93:                               ;   in Loop: Header=BB5_32 Depth=2
	s_or_b32 exec_lo, exec_lo, s22
	global_load_b64 v[16:17], v1, s[12:13] offset:16
	s_mov_b32 s23, exec_lo
	s_mov_b32 s22, exec_lo
	v_mbcnt_lo_u32_b32 v0, s23, 0
	s_wait_xcnt 0x0
	s_delay_alu instid0(VALU_DEP_1)
	v_cmpx_eq_u32_e32 0, v0
	s_cbranch_execz .LBB5_95
; %bb.94:                               ;   in Loop: Header=BB5_32 Depth=2
	s_bcnt1_i32_b32 s23, s23
	s_delay_alu instid0(SALU_CYCLE_1)
	v_mov_b32_e32 v0, s23
	global_wb scope:SCOPE_SYS
	s_wait_loadcnt 0x0
	s_wait_storecnt 0x0
	global_atomic_add_u64 v[16:17], v[0:1], off offset:8 scope:SCOPE_SYS
.LBB5_95:                               ;   in Loop: Header=BB5_32 Depth=2
	s_wait_xcnt 0x0
	s_or_b32 exec_lo, exec_lo, s22
	s_wait_loadcnt 0x0
	global_load_b64 v[18:19], v[16:17], off offset:16
	s_wait_loadcnt 0x0
	v_cmp_eq_u64_e32 vcc_lo, 0, v[18:19]
	s_cbranch_vccnz .LBB5_97
; %bb.96:                               ;   in Loop: Header=BB5_32 Depth=2
	global_load_b32 v0, v[16:17], off offset:24
	s_wait_loadcnt 0x0
	v_readfirstlane_b32 s22, v0
	global_wb scope:SCOPE_SYS
	s_wait_storecnt 0x0
	s_wait_xcnt 0x0
	global_store_b64 v[18:19], v[0:1], off scope:SCOPE_SYS
	s_and_b32 m0, s22, 0xffffff
	s_sendmsg sendmsg(MSG_INTERRUPT)
.LBB5_97:                               ;   in Loop: Header=BB5_32 Depth=2
	s_wait_xcnt 0x0
	s_or_b32 exec_lo, exec_lo, s3
	v_mov_b32_e32 v47, v1
	s_delay_alu instid0(VALU_DEP_1)
	v_add_nc_u64_e32 v[16:17], v[36:37], v[46:47]
	s_branch .LBB5_101
.LBB5_98:                               ;   in Loop: Header=BB5_101 Depth=3
	s_wait_xcnt 0x0
	s_or_b32 exec_lo, exec_lo, s3
	s_delay_alu instid0(VALU_DEP_1)
	v_readfirstlane_b32 s3, v0
	s_cmp_eq_u32 s3, 0
	s_cbranch_scc1 .LBB5_100
; %bb.99:                               ;   in Loop: Header=BB5_101 Depth=3
	s_sleep 1
	s_cbranch_execnz .LBB5_101
	s_branch .LBB5_103
.LBB5_100:                              ;   in Loop: Header=BB5_32 Depth=2
	s_branch .LBB5_103
.LBB5_101:                              ;   Parent Loop BB5_3 Depth=1
                                        ;     Parent Loop BB5_32 Depth=2
                                        ; =>    This Inner Loop Header: Depth=3
	v_mov_b32_e32 v0, 1
	s_and_saveexec_b32 s3, s2
	s_cbranch_execz .LBB5_98
; %bb.102:                              ;   in Loop: Header=BB5_101 Depth=3
	global_load_b32 v0, v[50:51], off offset:20 scope:SCOPE_SYS
	s_wait_loadcnt 0x0
	global_inv scope:SCOPE_SYS
	v_and_b32_e32 v0, 1, v0
	s_branch .LBB5_98
.LBB5_103:                              ;   in Loop: Header=BB5_32 Depth=2
	global_load_b64 v[16:17], v[16:17], off
	s_wait_xcnt 0x0
	s_and_saveexec_b32 s22, s2
	s_cbranch_execz .LBB5_31
; %bb.104:                              ;   in Loop: Header=BB5_32 Depth=2
	s_clause 0x2
	global_load_b64 v[18:19], v1, s[12:13] offset:40
	global_load_b64 v[26:27], v1, s[12:13] offset:24 scope:SCOPE_SYS
	global_load_b64 v[22:23], v1, s[12:13]
	s_wait_loadcnt 0x2
	v_readfirstlane_b32 s28, v18
	v_readfirstlane_b32 s29, v19
	s_add_nc_u64 s[2:3], s[28:29], 1
	s_delay_alu instid0(SALU_CYCLE_1) | instskip(NEXT) | instid1(SALU_CYCLE_1)
	s_add_nc_u64 s[20:21], s[2:3], s[20:21]
	s_cmp_eq_u64 s[20:21], 0
	s_cselect_b32 s3, s3, s21
	s_cselect_b32 s2, s2, s20
	s_delay_alu instid0(SALU_CYCLE_1) | instskip(SKIP_1) | instid1(SALU_CYCLE_1)
	v_dual_mov_b32 v25, s3 :: v_dual_mov_b32 v24, s2
	s_and_b64 s[20:21], s[2:3], s[28:29]
	s_mul_u64 s[20:21], s[20:21], 24
	s_wait_loadcnt 0x0
	v_add_nc_u64_e32 v[18:19], s[20:21], v[22:23]
	global_store_b64 v[18:19], v[26:27], off
	global_wb scope:SCOPE_SYS
	s_wait_storecnt 0x0
	s_wait_xcnt 0x0
	global_atomic_cmpswap_b64 v[24:25], v1, v[24:27], s[12:13] offset:24 th:TH_ATOMIC_RETURN scope:SCOPE_SYS
	s_wait_loadcnt 0x0
	v_cmp_ne_u64_e32 vcc_lo, v[24:25], v[26:27]
	s_wait_xcnt 0x0
	s_and_b32 exec_lo, exec_lo, vcc_lo
	s_cbranch_execz .LBB5_31
; %bb.105:                              ;   in Loop: Header=BB5_32 Depth=2
	s_mov_b32 s20, 0
.LBB5_106:                              ;   Parent Loop BB5_3 Depth=1
                                        ;     Parent Loop BB5_32 Depth=2
                                        ; =>    This Inner Loop Header: Depth=3
	v_dual_mov_b32 v22, s2 :: v_dual_mov_b32 v23, s3
	s_sleep 1
	global_store_b64 v[18:19], v[24:25], off
	global_wb scope:SCOPE_SYS
	s_wait_storecnt 0x0
	s_wait_xcnt 0x0
	global_atomic_cmpswap_b64 v[22:23], v1, v[22:25], s[12:13] offset:24 th:TH_ATOMIC_RETURN scope:SCOPE_SYS
	s_wait_loadcnt 0x0
	v_cmp_eq_u64_e32 vcc_lo, v[22:23], v[24:25]
	s_wait_xcnt 0x0
	v_mov_b64_e32 v[24:25], v[22:23]
	s_or_b32 s20, vcc_lo, s20
	s_delay_alu instid0(SALU_CYCLE_1)
	s_and_not1_b32 exec_lo, exec_lo, s20
	s_cbranch_execnz .LBB5_106
	s_branch .LBB5_31
.LBB5_107:                              ;   in Loop: Header=BB5_3 Depth=1
.LBB5_108:                              ;   in Loop: Header=BB5_3 Depth=1
	s_and_b32 vcc_lo, exec_lo, s26
	s_cbranch_vccz .LBB5_215
.LBB5_109:                              ;   in Loop: Header=BB5_3 Depth=1
	s_wait_loadcnt 0x0
	v_dual_mov_b32 v19, v17 :: v_dual_bitop2_b32 v6, 2, v16 bitop3:0x40
	v_and_b32_e32 v18, -3, v16
	s_mov_b64 s[16:17], 45
	s_get_pc_i64 s[14:15]
	s_add_nc_u64 s[14:15], s[14:15], .str.6@rel64+4
	s_branch .LBB5_111
.LBB5_110:                              ;   in Loop: Header=BB5_111 Depth=2
	s_or_b32 exec_lo, exec_lo, s22
	s_sub_nc_u64 s[16:17], s[16:17], s[18:19]
	s_add_nc_u64 s[14:15], s[14:15], s[18:19]
	s_cmp_lg_u64 s[16:17], 0
	s_cbranch_scc0 .LBB5_186
.LBB5_111:                              ;   Parent Loop BB5_3 Depth=1
                                        ; =>  This Loop Header: Depth=2
                                        ;       Child Loop BB5_114 Depth 3
                                        ;       Child Loop BB5_121 Depth 3
	;; [unrolled: 1-line block ×11, first 2 shown]
	v_min_u64 v[20:21], s[16:17], 56
	v_cmp_gt_u64_e64 s2, s[16:17], 7
	s_and_b32 vcc_lo, exec_lo, s2
	v_readfirstlane_b32 s18, v20
	v_readfirstlane_b32 s19, v21
	s_cbranch_vccnz .LBB5_116
; %bb.112:                              ;   in Loop: Header=BB5_111 Depth=2
	v_mov_b64_e32 v[20:21], 0
	s_cmp_eq_u64 s[16:17], 0
	s_cbranch_scc1 .LBB5_115
; %bb.113:                              ;   in Loop: Header=BB5_111 Depth=2
	s_mov_b64 s[2:3], 0
	s_mov_b64 s[20:21], 0
.LBB5_114:                              ;   Parent Loop BB5_3 Depth=1
                                        ;     Parent Loop BB5_111 Depth=2
                                        ; =>    This Inner Loop Header: Depth=3
	s_wait_xcnt 0x0
	s_add_nc_u64 s[22:23], s[14:15], s[20:21]
	s_add_nc_u64 s[20:21], s[20:21], 1
	global_load_u8 v0, v1, s[22:23]
	s_cmp_lg_u32 s18, s20
	s_wait_loadcnt 0x0
	v_and_b32_e32 v0, 0xffff, v0
	s_delay_alu instid0(VALU_DEP_1) | instskip(SKIP_1) | instid1(VALU_DEP_1)
	v_lshlrev_b64_e32 v[22:23], s2, v[0:1]
	s_add_nc_u64 s[2:3], s[2:3], 8
	v_or_b32_e32 v20, v22, v20
	s_delay_alu instid0(VALU_DEP_2)
	v_or_b32_e32 v21, v23, v21
	s_cbranch_scc1 .LBB5_114
.LBB5_115:                              ;   in Loop: Header=BB5_111 Depth=2
	s_mov_b64 s[2:3], s[14:15]
	s_mov_b32 s28, 0
	s_cbranch_execz .LBB5_117
	s_branch .LBB5_118
.LBB5_116:                              ;   in Loop: Header=BB5_111 Depth=2
	s_add_nc_u64 s[2:3], s[14:15], 8
	s_mov_b32 s28, 0
.LBB5_117:                              ;   in Loop: Header=BB5_111 Depth=2
	global_load_b64 v[20:21], v1, s[14:15]
	s_add_co_i32 s28, s18, -8
.LBB5_118:                              ;   in Loop: Header=BB5_111 Depth=2
	s_delay_alu instid0(SALU_CYCLE_1)
	s_cmp_gt_u32 s28, 7
	s_cbranch_scc1 .LBB5_123
; %bb.119:                              ;   in Loop: Header=BB5_111 Depth=2
	v_mov_b64_e32 v[22:23], 0
	s_cmp_eq_u32 s28, 0
	s_cbranch_scc1 .LBB5_122
; %bb.120:                              ;   in Loop: Header=BB5_111 Depth=2
	s_mov_b64 s[20:21], 0
	s_wait_xcnt 0x0
	s_mov_b64 s[22:23], 0
.LBB5_121:                              ;   Parent Loop BB5_3 Depth=1
                                        ;     Parent Loop BB5_111 Depth=2
                                        ; =>    This Inner Loop Header: Depth=3
	s_wait_xcnt 0x0
	s_add_nc_u64 s[30:31], s[2:3], s[22:23]
	s_add_nc_u64 s[22:23], s[22:23], 1
	global_load_u8 v0, v1, s[30:31]
	s_cmp_lg_u32 s28, s22
	s_wait_loadcnt 0x0
	v_and_b32_e32 v0, 0xffff, v0
	s_delay_alu instid0(VALU_DEP_1) | instskip(SKIP_1) | instid1(VALU_DEP_1)
	v_lshlrev_b64_e32 v[24:25], s20, v[0:1]
	s_add_nc_u64 s[20:21], s[20:21], 8
	v_or_b32_e32 v22, v24, v22
	s_delay_alu instid0(VALU_DEP_2)
	v_or_b32_e32 v23, v25, v23
	s_cbranch_scc1 .LBB5_121
.LBB5_122:                              ;   in Loop: Header=BB5_111 Depth=2
	s_wait_xcnt 0x0
	s_mov_b64 s[20:21], s[2:3]
	s_mov_b32 s29, 0
	s_cbranch_execz .LBB5_124
	s_branch .LBB5_125
.LBB5_123:                              ;   in Loop: Header=BB5_111 Depth=2
	s_add_nc_u64 s[20:21], s[2:3], 8
	s_wait_xcnt 0x0
                                        ; implicit-def: $vgpr22_vgpr23
	s_mov_b32 s29, 0
.LBB5_124:                              ;   in Loop: Header=BB5_111 Depth=2
	global_load_b64 v[22:23], v1, s[2:3]
	s_add_co_i32 s29, s28, -8
.LBB5_125:                              ;   in Loop: Header=BB5_111 Depth=2
	s_delay_alu instid0(SALU_CYCLE_1)
	s_cmp_gt_u32 s29, 7
	s_cbranch_scc1 .LBB5_130
; %bb.126:                              ;   in Loop: Header=BB5_111 Depth=2
	v_mov_b64_e32 v[24:25], 0
	s_cmp_eq_u32 s29, 0
	s_cbranch_scc1 .LBB5_129
; %bb.127:                              ;   in Loop: Header=BB5_111 Depth=2
	s_wait_xcnt 0x0
	s_mov_b64 s[2:3], 0
	s_mov_b64 s[22:23], 0
.LBB5_128:                              ;   Parent Loop BB5_3 Depth=1
                                        ;     Parent Loop BB5_111 Depth=2
                                        ; =>    This Inner Loop Header: Depth=3
	s_wait_xcnt 0x0
	s_add_nc_u64 s[30:31], s[20:21], s[22:23]
	s_add_nc_u64 s[22:23], s[22:23], 1
	global_load_u8 v0, v1, s[30:31]
	s_cmp_lg_u32 s29, s22
	s_wait_loadcnt 0x0
	v_and_b32_e32 v0, 0xffff, v0
	s_delay_alu instid0(VALU_DEP_1) | instskip(SKIP_1) | instid1(VALU_DEP_1)
	v_lshlrev_b64_e32 v[26:27], s2, v[0:1]
	s_add_nc_u64 s[2:3], s[2:3], 8
	v_or_b32_e32 v24, v26, v24
	s_delay_alu instid0(VALU_DEP_2)
	v_or_b32_e32 v25, v27, v25
	s_cbranch_scc1 .LBB5_128
.LBB5_129:                              ;   in Loop: Header=BB5_111 Depth=2
	s_wait_xcnt 0x0
	s_mov_b64 s[2:3], s[20:21]
	s_mov_b32 s28, 0
	s_cbranch_execz .LBB5_131
	s_branch .LBB5_132
.LBB5_130:                              ;   in Loop: Header=BB5_111 Depth=2
	s_wait_xcnt 0x0
	s_add_nc_u64 s[2:3], s[20:21], 8
	s_mov_b32 s28, 0
.LBB5_131:                              ;   in Loop: Header=BB5_111 Depth=2
	global_load_b64 v[24:25], v1, s[20:21]
	s_add_co_i32 s28, s29, -8
.LBB5_132:                              ;   in Loop: Header=BB5_111 Depth=2
	s_delay_alu instid0(SALU_CYCLE_1)
	s_cmp_gt_u32 s28, 7
	s_cbranch_scc1 .LBB5_137
; %bb.133:                              ;   in Loop: Header=BB5_111 Depth=2
	v_mov_b64_e32 v[26:27], 0
	s_cmp_eq_u32 s28, 0
	s_cbranch_scc1 .LBB5_136
; %bb.134:                              ;   in Loop: Header=BB5_111 Depth=2
	s_wait_xcnt 0x0
	s_mov_b64 s[20:21], 0
	s_mov_b64 s[22:23], 0
.LBB5_135:                              ;   Parent Loop BB5_3 Depth=1
                                        ;     Parent Loop BB5_111 Depth=2
                                        ; =>    This Inner Loop Header: Depth=3
	s_wait_xcnt 0x0
	s_add_nc_u64 s[30:31], s[2:3], s[22:23]
	s_add_nc_u64 s[22:23], s[22:23], 1
	global_load_u8 v0, v1, s[30:31]
	s_cmp_lg_u32 s28, s22
	s_wait_loadcnt 0x0
	v_and_b32_e32 v0, 0xffff, v0
	s_delay_alu instid0(VALU_DEP_1) | instskip(SKIP_1) | instid1(VALU_DEP_1)
	v_lshlrev_b64_e32 v[28:29], s20, v[0:1]
	s_add_nc_u64 s[20:21], s[20:21], 8
	v_or_b32_e32 v26, v28, v26
	s_delay_alu instid0(VALU_DEP_2)
	v_or_b32_e32 v27, v29, v27
	s_cbranch_scc1 .LBB5_135
.LBB5_136:                              ;   in Loop: Header=BB5_111 Depth=2
	s_wait_xcnt 0x0
	s_mov_b64 s[20:21], s[2:3]
	s_mov_b32 s29, 0
	s_cbranch_execz .LBB5_138
	s_branch .LBB5_139
.LBB5_137:                              ;   in Loop: Header=BB5_111 Depth=2
	s_wait_xcnt 0x0
	s_add_nc_u64 s[20:21], s[2:3], 8
                                        ; implicit-def: $vgpr26_vgpr27
	s_mov_b32 s29, 0
.LBB5_138:                              ;   in Loop: Header=BB5_111 Depth=2
	global_load_b64 v[26:27], v1, s[2:3]
	s_add_co_i32 s29, s28, -8
.LBB5_139:                              ;   in Loop: Header=BB5_111 Depth=2
	s_delay_alu instid0(SALU_CYCLE_1)
	s_cmp_gt_u32 s29, 7
	s_cbranch_scc1 .LBB5_144
; %bb.140:                              ;   in Loop: Header=BB5_111 Depth=2
	v_mov_b64_e32 v[28:29], 0
	s_cmp_eq_u32 s29, 0
	s_cbranch_scc1 .LBB5_143
; %bb.141:                              ;   in Loop: Header=BB5_111 Depth=2
	s_wait_xcnt 0x0
	s_mov_b64 s[2:3], 0
	s_mov_b64 s[22:23], 0
.LBB5_142:                              ;   Parent Loop BB5_3 Depth=1
                                        ;     Parent Loop BB5_111 Depth=2
                                        ; =>    This Inner Loop Header: Depth=3
	s_wait_xcnt 0x0
	s_add_nc_u64 s[30:31], s[20:21], s[22:23]
	s_add_nc_u64 s[22:23], s[22:23], 1
	global_load_u8 v0, v1, s[30:31]
	s_cmp_lg_u32 s29, s22
	s_wait_loadcnt 0x0
	v_and_b32_e32 v0, 0xffff, v0
	s_delay_alu instid0(VALU_DEP_1) | instskip(SKIP_1) | instid1(VALU_DEP_1)
	v_lshlrev_b64_e32 v[30:31], s2, v[0:1]
	s_add_nc_u64 s[2:3], s[2:3], 8
	v_or_b32_e32 v28, v30, v28
	s_delay_alu instid0(VALU_DEP_2)
	v_or_b32_e32 v29, v31, v29
	s_cbranch_scc1 .LBB5_142
.LBB5_143:                              ;   in Loop: Header=BB5_111 Depth=2
	s_wait_xcnt 0x0
	s_mov_b64 s[2:3], s[20:21]
	s_mov_b32 s28, 0
	s_cbranch_execz .LBB5_145
	s_branch .LBB5_146
.LBB5_144:                              ;   in Loop: Header=BB5_111 Depth=2
	s_wait_xcnt 0x0
	s_add_nc_u64 s[2:3], s[20:21], 8
	s_mov_b32 s28, 0
.LBB5_145:                              ;   in Loop: Header=BB5_111 Depth=2
	global_load_b64 v[28:29], v1, s[20:21]
	s_add_co_i32 s28, s29, -8
.LBB5_146:                              ;   in Loop: Header=BB5_111 Depth=2
	s_delay_alu instid0(SALU_CYCLE_1)
	s_cmp_gt_u32 s28, 7
	s_cbranch_scc1 .LBB5_151
; %bb.147:                              ;   in Loop: Header=BB5_111 Depth=2
	v_mov_b64_e32 v[30:31], 0
	s_cmp_eq_u32 s28, 0
	s_cbranch_scc1 .LBB5_150
; %bb.148:                              ;   in Loop: Header=BB5_111 Depth=2
	s_wait_xcnt 0x0
	s_mov_b64 s[20:21], 0
	s_mov_b64 s[22:23], 0
.LBB5_149:                              ;   Parent Loop BB5_3 Depth=1
                                        ;     Parent Loop BB5_111 Depth=2
                                        ; =>    This Inner Loop Header: Depth=3
	s_wait_xcnt 0x0
	s_add_nc_u64 s[30:31], s[2:3], s[22:23]
	s_add_nc_u64 s[22:23], s[22:23], 1
	global_load_u8 v0, v1, s[30:31]
	s_cmp_lg_u32 s28, s22
	s_wait_loadcnt 0x0
	v_and_b32_e32 v0, 0xffff, v0
	s_delay_alu instid0(VALU_DEP_1) | instskip(SKIP_1) | instid1(VALU_DEP_1)
	v_lshlrev_b64_e32 v[32:33], s20, v[0:1]
	s_add_nc_u64 s[20:21], s[20:21], 8
	v_or_b32_e32 v30, v32, v30
	s_delay_alu instid0(VALU_DEP_2)
	v_or_b32_e32 v31, v33, v31
	s_cbranch_scc1 .LBB5_149
.LBB5_150:                              ;   in Loop: Header=BB5_111 Depth=2
	s_wait_xcnt 0x0
	s_mov_b64 s[20:21], s[2:3]
	s_mov_b32 s29, 0
	s_cbranch_execz .LBB5_152
	s_branch .LBB5_153
.LBB5_151:                              ;   in Loop: Header=BB5_111 Depth=2
	s_wait_xcnt 0x0
	s_add_nc_u64 s[20:21], s[2:3], 8
                                        ; implicit-def: $vgpr30_vgpr31
	s_mov_b32 s29, 0
.LBB5_152:                              ;   in Loop: Header=BB5_111 Depth=2
	global_load_b64 v[30:31], v1, s[2:3]
	s_add_co_i32 s29, s28, -8
.LBB5_153:                              ;   in Loop: Header=BB5_111 Depth=2
	s_delay_alu instid0(SALU_CYCLE_1)
	s_cmp_gt_u32 s29, 7
	s_cbranch_scc1 .LBB5_158
; %bb.154:                              ;   in Loop: Header=BB5_111 Depth=2
	v_mov_b64_e32 v[32:33], 0
	s_cmp_eq_u32 s29, 0
	s_cbranch_scc1 .LBB5_157
; %bb.155:                              ;   in Loop: Header=BB5_111 Depth=2
	s_wait_xcnt 0x0
	s_mov_b64 s[2:3], 0
	s_mov_b64 s[22:23], s[20:21]
.LBB5_156:                              ;   Parent Loop BB5_3 Depth=1
                                        ;     Parent Loop BB5_111 Depth=2
                                        ; =>    This Inner Loop Header: Depth=3
	global_load_u8 v0, v1, s[22:23]
	s_add_co_i32 s29, s29, -1
	s_wait_xcnt 0x0
	s_add_nc_u64 s[22:23], s[22:23], 1
	s_cmp_lg_u32 s29, 0
	s_wait_loadcnt 0x0
	v_and_b32_e32 v0, 0xffff, v0
	s_delay_alu instid0(VALU_DEP_1) | instskip(SKIP_1) | instid1(VALU_DEP_1)
	v_lshlrev_b64_e32 v[34:35], s2, v[0:1]
	s_add_nc_u64 s[2:3], s[2:3], 8
	v_or_b32_e32 v32, v34, v32
	s_delay_alu instid0(VALU_DEP_2)
	v_or_b32_e32 v33, v35, v33
	s_cbranch_scc1 .LBB5_156
.LBB5_157:                              ;   in Loop: Header=BB5_111 Depth=2
	s_wait_xcnt 0x0
	s_cbranch_execz .LBB5_159
	s_branch .LBB5_160
.LBB5_158:                              ;   in Loop: Header=BB5_111 Depth=2
	s_wait_xcnt 0x0
.LBB5_159:                              ;   in Loop: Header=BB5_111 Depth=2
	global_load_b64 v[32:33], v1, s[20:21]
.LBB5_160:                              ;   in Loop: Header=BB5_111 Depth=2
	v_readfirstlane_b32 s2, v38
	v_mov_b64_e32 v[50:51], 0
	s_delay_alu instid0(VALU_DEP_2)
	v_cmp_eq_u32_e64 s2, s2, v38
	s_wait_xcnt 0x0
	s_and_saveexec_b32 s3, s2
	s_cbranch_execz .LBB5_166
; %bb.161:                              ;   in Loop: Header=BB5_111 Depth=2
	global_load_b64 v[36:37], v1, s[12:13] offset:24 scope:SCOPE_SYS
	s_wait_loadcnt 0x0
	global_inv scope:SCOPE_SYS
	s_clause 0x1
	global_load_b64 v[34:35], v1, s[12:13] offset:40
	global_load_b64 v[50:51], v1, s[12:13]
	s_mov_b32 s20, exec_lo
	s_wait_loadcnt 0x1
	v_and_b32_e32 v34, v34, v36
	v_and_b32_e32 v35, v35, v37
	s_delay_alu instid0(VALU_DEP_1) | instskip(SKIP_1) | instid1(VALU_DEP_1)
	v_mul_u64_e32 v[34:35], 24, v[34:35]
	s_wait_loadcnt 0x0
	v_add_nc_u64_e32 v[34:35], v[50:51], v[34:35]
	global_load_b64 v[34:35], v[34:35], off scope:SCOPE_SYS
	s_wait_xcnt 0x0
	s_wait_loadcnt 0x0
	global_atomic_cmpswap_b64 v[50:51], v1, v[34:37], s[12:13] offset:24 th:TH_ATOMIC_RETURN scope:SCOPE_SYS
	s_wait_loadcnt 0x0
	global_inv scope:SCOPE_SYS
	s_wait_xcnt 0x0
	v_cmpx_ne_u64_e64 v[50:51], v[36:37]
	s_cbranch_execz .LBB5_165
; %bb.162:                              ;   in Loop: Header=BB5_111 Depth=2
	s_mov_b32 s21, 0
.LBB5_163:                              ;   Parent Loop BB5_3 Depth=1
                                        ;     Parent Loop BB5_111 Depth=2
                                        ; =>    This Inner Loop Header: Depth=3
	s_sleep 1
	s_clause 0x1
	global_load_b64 v[34:35], v1, s[12:13] offset:40
	global_load_b64 v[52:53], v1, s[12:13]
	v_mov_b64_e32 v[36:37], v[50:51]
	s_wait_loadcnt 0x1
	s_delay_alu instid0(VALU_DEP_1) | instskip(SKIP_1) | instid1(VALU_DEP_1)
	v_and_b32_e32 v0, v34, v36
	s_wait_loadcnt 0x0
	v_mad_nc_u64_u32 v[50:51], v0, 24, v[52:53]
	s_delay_alu instid0(VALU_DEP_3) | instskip(NEXT) | instid1(VALU_DEP_1)
	v_and_b32_e32 v0, v35, v37
	v_mad_u32 v51, v0, 24, v51
	global_load_b64 v[34:35], v[50:51], off scope:SCOPE_SYS
	s_wait_xcnt 0x0
	s_wait_loadcnt 0x0
	global_atomic_cmpswap_b64 v[50:51], v1, v[34:37], s[12:13] offset:24 th:TH_ATOMIC_RETURN scope:SCOPE_SYS
	s_wait_loadcnt 0x0
	global_inv scope:SCOPE_SYS
	v_cmp_eq_u64_e32 vcc_lo, v[50:51], v[36:37]
	s_or_b32 s21, vcc_lo, s21
	s_wait_xcnt 0x0
	s_and_not1_b32 exec_lo, exec_lo, s21
	s_cbranch_execnz .LBB5_163
; %bb.164:                              ;   in Loop: Header=BB5_111 Depth=2
	s_or_b32 exec_lo, exec_lo, s21
.LBB5_165:                              ;   in Loop: Header=BB5_111 Depth=2
	s_delay_alu instid0(SALU_CYCLE_1)
	s_or_b32 exec_lo, exec_lo, s20
.LBB5_166:                              ;   in Loop: Header=BB5_111 Depth=2
	s_delay_alu instid0(SALU_CYCLE_1)
	s_or_b32 exec_lo, exec_lo, s3
	s_clause 0x1
	global_load_b64 v[52:53], v1, s[12:13] offset:40
	global_load_b128 v[34:37], v1, s[12:13]
	v_readfirstlane_b32 s20, v50
	v_readfirstlane_b32 s21, v51
	s_mov_b32 s3, exec_lo
	s_wait_loadcnt 0x1
	v_and_b32_e32 v52, s20, v52
	v_and_b32_e32 v53, s21, v53
	s_delay_alu instid0(VALU_DEP_1) | instskip(SKIP_1) | instid1(VALU_DEP_1)
	v_mul_u64_e32 v[50:51], 24, v[52:53]
	s_wait_loadcnt 0x0
	v_add_nc_u64_e32 v[50:51], v[34:35], v[50:51]
	s_wait_xcnt 0x0
	s_and_saveexec_b32 s22, s2
	s_cbranch_execz .LBB5_168
; %bb.167:                              ;   in Loop: Header=BB5_111 Depth=2
	v_mov_b32_e32 v0, s3
	global_store_b128 v[50:51], v[0:3], off offset:8
.LBB5_168:                              ;   in Loop: Header=BB5_111 Depth=2
	s_wait_xcnt 0x0
	s_or_b32 exec_lo, exec_lo, s22
	v_cmp_lt_u64_e64 vcc_lo, s[16:17], 57
	v_lshlrev_b64_e32 v[52:53], 12, v[52:53]
	v_and_b32_e32 v7, 0xffffff1f, v18
	s_lshl_b32 s3, s18, 2
	s_delay_alu instid0(SALU_CYCLE_1) | instskip(SKIP_1) | instid1(VALU_DEP_3)
	s_add_co_i32 s3, s3, 28
	v_cndmask_b32_e32 v0, 0, v6, vcc_lo
	v_add_nc_u64_e32 v[36:37], v[36:37], v[52:53]
	s_delay_alu instid0(VALU_DEP_2) | instskip(NEXT) | instid1(VALU_DEP_2)
	v_or_b32_e32 v0, v7, v0
	v_readfirstlane_b32 s22, v36
	s_delay_alu instid0(VALU_DEP_3) | instskip(NEXT) | instid1(VALU_DEP_3)
	v_readfirstlane_b32 s23, v37
	v_and_or_b32 v18, 0x1e0, s3, v0
	s_clause 0x3
	global_store_b128 v46, v[18:21], s[22:23]
	global_store_b128 v46, v[22:25], s[22:23] offset:16
	global_store_b128 v46, v[26:29], s[22:23] offset:32
	;; [unrolled: 1-line block ×3, first 2 shown]
	s_wait_xcnt 0x0
	s_and_saveexec_b32 s3, s2
	s_cbranch_execz .LBB5_176
; %bb.169:                              ;   in Loop: Header=BB5_111 Depth=2
	s_clause 0x1
	global_load_b64 v[26:27], v1, s[12:13] offset:32 scope:SCOPE_SYS
	global_load_b64 v[18:19], v1, s[12:13] offset:40
	s_mov_b32 s22, exec_lo
	v_dual_mov_b32 v24, s20 :: v_dual_mov_b32 v25, s21
	s_wait_loadcnt 0x0
	v_and_b32_e32 v19, s21, v19
	v_and_b32_e32 v18, s20, v18
	s_delay_alu instid0(VALU_DEP_1) | instskip(NEXT) | instid1(VALU_DEP_1)
	v_mul_u64_e32 v[18:19], 24, v[18:19]
	v_add_nc_u64_e32 v[22:23], v[34:35], v[18:19]
	global_store_b64 v[22:23], v[26:27], off
	global_wb scope:SCOPE_SYS
	s_wait_storecnt 0x0
	s_wait_xcnt 0x0
	global_atomic_cmpswap_b64 v[20:21], v1, v[24:27], s[12:13] offset:32 th:TH_ATOMIC_RETURN scope:SCOPE_SYS
	s_wait_loadcnt 0x0
	s_wait_xcnt 0x0
	v_cmpx_ne_u64_e64 v[20:21], v[26:27]
	s_cbranch_execz .LBB5_172
; %bb.170:                              ;   in Loop: Header=BB5_111 Depth=2
	s_mov_b32 s23, 0
.LBB5_171:                              ;   Parent Loop BB5_3 Depth=1
                                        ;     Parent Loop BB5_111 Depth=2
                                        ; =>    This Inner Loop Header: Depth=3
	v_dual_mov_b32 v18, s20 :: v_dual_mov_b32 v19, s21
	s_sleep 1
	global_store_b64 v[22:23], v[20:21], off
	global_wb scope:SCOPE_SYS
	s_wait_storecnt 0x0
	s_wait_xcnt 0x0
	global_atomic_cmpswap_b64 v[18:19], v1, v[18:21], s[12:13] offset:32 th:TH_ATOMIC_RETURN scope:SCOPE_SYS
	s_wait_loadcnt 0x0
	v_cmp_eq_u64_e32 vcc_lo, v[18:19], v[20:21]
	s_wait_xcnt 0x0
	v_mov_b64_e32 v[20:21], v[18:19]
	s_or_b32 s23, vcc_lo, s23
	s_delay_alu instid0(SALU_CYCLE_1)
	s_and_not1_b32 exec_lo, exec_lo, s23
	s_cbranch_execnz .LBB5_171
.LBB5_172:                              ;   in Loop: Header=BB5_111 Depth=2
	s_or_b32 exec_lo, exec_lo, s22
	global_load_b64 v[18:19], v1, s[12:13] offset:16
	s_mov_b32 s23, exec_lo
	s_mov_b32 s22, exec_lo
	v_mbcnt_lo_u32_b32 v0, s23, 0
	s_wait_xcnt 0x0
	s_delay_alu instid0(VALU_DEP_1)
	v_cmpx_eq_u32_e32 0, v0
	s_cbranch_execz .LBB5_174
; %bb.173:                              ;   in Loop: Header=BB5_111 Depth=2
	s_bcnt1_i32_b32 s23, s23
	s_delay_alu instid0(SALU_CYCLE_1)
	v_mov_b32_e32 v0, s23
	global_wb scope:SCOPE_SYS
	s_wait_loadcnt 0x0
	s_wait_storecnt 0x0
	global_atomic_add_u64 v[18:19], v[0:1], off offset:8 scope:SCOPE_SYS
.LBB5_174:                              ;   in Loop: Header=BB5_111 Depth=2
	s_wait_xcnt 0x0
	s_or_b32 exec_lo, exec_lo, s22
	s_wait_loadcnt 0x0
	global_load_b64 v[20:21], v[18:19], off offset:16
	s_wait_loadcnt 0x0
	v_cmp_eq_u64_e32 vcc_lo, 0, v[20:21]
	s_cbranch_vccnz .LBB5_176
; %bb.175:                              ;   in Loop: Header=BB5_111 Depth=2
	global_load_b32 v0, v[18:19], off offset:24
	s_wait_loadcnt 0x0
	v_readfirstlane_b32 s22, v0
	global_wb scope:SCOPE_SYS
	s_wait_storecnt 0x0
	s_wait_xcnt 0x0
	global_store_b64 v[20:21], v[0:1], off scope:SCOPE_SYS
	s_and_b32 m0, s22, 0xffffff
	s_sendmsg sendmsg(MSG_INTERRUPT)
.LBB5_176:                              ;   in Loop: Header=BB5_111 Depth=2
	s_wait_xcnt 0x0
	s_or_b32 exec_lo, exec_lo, s3
	v_mov_b32_e32 v47, v1
	s_delay_alu instid0(VALU_DEP_1)
	v_add_nc_u64_e32 v[18:19], v[36:37], v[46:47]
	s_branch .LBB5_180
.LBB5_177:                              ;   in Loop: Header=BB5_180 Depth=3
	s_wait_xcnt 0x0
	s_or_b32 exec_lo, exec_lo, s3
	s_delay_alu instid0(VALU_DEP_1)
	v_readfirstlane_b32 s3, v0
	s_cmp_eq_u32 s3, 0
	s_cbranch_scc1 .LBB5_179
; %bb.178:                              ;   in Loop: Header=BB5_180 Depth=3
	s_sleep 1
	s_cbranch_execnz .LBB5_180
	s_branch .LBB5_182
.LBB5_179:                              ;   in Loop: Header=BB5_111 Depth=2
	s_branch .LBB5_182
.LBB5_180:                              ;   Parent Loop BB5_3 Depth=1
                                        ;     Parent Loop BB5_111 Depth=2
                                        ; =>    This Inner Loop Header: Depth=3
	v_mov_b32_e32 v0, 1
	s_and_saveexec_b32 s3, s2
	s_cbranch_execz .LBB5_177
; %bb.181:                              ;   in Loop: Header=BB5_180 Depth=3
	global_load_b32 v0, v[50:51], off offset:20 scope:SCOPE_SYS
	s_wait_loadcnt 0x0
	global_inv scope:SCOPE_SYS
	v_and_b32_e32 v0, 1, v0
	s_branch .LBB5_177
.LBB5_182:                              ;   in Loop: Header=BB5_111 Depth=2
	global_load_b64 v[18:19], v[18:19], off
	s_wait_xcnt 0x0
	s_and_saveexec_b32 s22, s2
	s_cbranch_execz .LBB5_110
; %bb.183:                              ;   in Loop: Header=BB5_111 Depth=2
	s_clause 0x2
	global_load_b64 v[20:21], v1, s[12:13] offset:40
	global_load_b64 v[28:29], v1, s[12:13] offset:24 scope:SCOPE_SYS
	global_load_b64 v[22:23], v1, s[12:13]
	s_wait_loadcnt 0x2
	v_readfirstlane_b32 s28, v20
	v_readfirstlane_b32 s29, v21
	s_add_nc_u64 s[2:3], s[28:29], 1
	s_delay_alu instid0(SALU_CYCLE_1) | instskip(NEXT) | instid1(SALU_CYCLE_1)
	s_add_nc_u64 s[20:21], s[2:3], s[20:21]
	s_cmp_eq_u64 s[20:21], 0
	s_cselect_b32 s3, s3, s21
	s_cselect_b32 s2, s2, s20
	s_delay_alu instid0(SALU_CYCLE_1) | instskip(SKIP_1) | instid1(SALU_CYCLE_1)
	v_dual_mov_b32 v27, s3 :: v_dual_mov_b32 v26, s2
	s_and_b64 s[20:21], s[2:3], s[28:29]
	s_mul_u64 s[20:21], s[20:21], 24
	s_wait_loadcnt 0x0
	v_add_nc_u64_e32 v[24:25], s[20:21], v[22:23]
	global_store_b64 v[24:25], v[28:29], off
	global_wb scope:SCOPE_SYS
	s_wait_storecnt 0x0
	s_wait_xcnt 0x0
	global_atomic_cmpswap_b64 v[22:23], v1, v[26:29], s[12:13] offset:24 th:TH_ATOMIC_RETURN scope:SCOPE_SYS
	s_wait_loadcnt 0x0
	v_cmp_ne_u64_e32 vcc_lo, v[22:23], v[28:29]
	s_wait_xcnt 0x0
	s_and_b32 exec_lo, exec_lo, vcc_lo
	s_cbranch_execz .LBB5_110
; %bb.184:                              ;   in Loop: Header=BB5_111 Depth=2
	s_mov_b32 s20, 0
.LBB5_185:                              ;   Parent Loop BB5_3 Depth=1
                                        ;     Parent Loop BB5_111 Depth=2
                                        ; =>    This Inner Loop Header: Depth=3
	v_dual_mov_b32 v20, s2 :: v_dual_mov_b32 v21, s3
	s_sleep 1
	global_store_b64 v[24:25], v[22:23], off
	global_wb scope:SCOPE_SYS
	s_wait_storecnt 0x0
	s_wait_xcnt 0x0
	global_atomic_cmpswap_b64 v[20:21], v1, v[20:23], s[12:13] offset:24 th:TH_ATOMIC_RETURN scope:SCOPE_SYS
	s_wait_loadcnt 0x0
	v_cmp_eq_u64_e32 vcc_lo, v[20:21], v[22:23]
	s_wait_xcnt 0x0
	v_mov_b64_e32 v[22:23], v[20:21]
	s_or_b32 s20, vcc_lo, s20
	s_delay_alu instid0(SALU_CYCLE_1)
	s_and_not1_b32 exec_lo, exec_lo, s20
	s_cbranch_execnz .LBB5_185
	s_branch .LBB5_110
.LBB5_186:                              ;   in Loop: Header=BB5_3 Depth=1
	s_branch .LBB5_243
.LBB5_187:                              ;   in Loop: Header=BB5_3 Depth=1
                                        ; implicit-def: $vgpr16_vgpr17
	s_cbranch_execz .LBB5_108
; %bb.188:                              ;   in Loop: Header=BB5_3 Depth=1
	v_readfirstlane_b32 s2, v38
	v_mov_b64_e32 v[6:7], 0
	s_delay_alu instid0(VALU_DEP_2)
	v_cmp_eq_u32_e64 s2, s2, v38
	s_and_saveexec_b32 s3, s2
	s_cbranch_execz .LBB5_194
; %bb.189:                              ;   in Loop: Header=BB5_3 Depth=1
	global_load_b64 v[18:19], v1, s[12:13] offset:24 scope:SCOPE_SYS
	s_wait_loadcnt 0x0
	global_inv scope:SCOPE_SYS
	s_clause 0x1
	global_load_b64 v[6:7], v1, s[12:13] offset:40
	global_load_b64 v[16:17], v1, s[12:13]
	s_mov_b32 s14, exec_lo
	s_wait_loadcnt 0x1
	v_and_b32_e32 v6, v6, v18
	v_and_b32_e32 v7, v7, v19
	s_delay_alu instid0(VALU_DEP_1) | instskip(SKIP_1) | instid1(VALU_DEP_1)
	v_mul_u64_e32 v[6:7], 24, v[6:7]
	s_wait_loadcnt 0x0
	v_add_nc_u64_e32 v[6:7], v[16:17], v[6:7]
	global_load_b64 v[16:17], v[6:7], off scope:SCOPE_SYS
	s_wait_xcnt 0x0
	s_wait_loadcnt 0x0
	global_atomic_cmpswap_b64 v[6:7], v1, v[16:19], s[12:13] offset:24 th:TH_ATOMIC_RETURN scope:SCOPE_SYS
	s_wait_loadcnt 0x0
	global_inv scope:SCOPE_SYS
	s_wait_xcnt 0x0
	v_cmpx_ne_u64_e64 v[6:7], v[18:19]
	s_cbranch_execz .LBB5_193
; %bb.190:                              ;   in Loop: Header=BB5_3 Depth=1
	s_mov_b32 s15, 0
.LBB5_191:                              ;   Parent Loop BB5_3 Depth=1
                                        ; =>  This Inner Loop Header: Depth=2
	s_sleep 1
	s_clause 0x1
	global_load_b64 v[16:17], v1, s[12:13] offset:40
	global_load_b64 v[22:23], v1, s[12:13]
	v_mov_b64_e32 v[18:19], v[6:7]
	s_wait_loadcnt 0x1
	s_delay_alu instid0(VALU_DEP_1) | instskip(SKIP_1) | instid1(VALU_DEP_1)
	v_and_b32_e32 v0, v16, v18
	s_wait_loadcnt 0x0
	v_mad_nc_u64_u32 v[6:7], v0, 24, v[22:23]
	s_delay_alu instid0(VALU_DEP_3) | instskip(NEXT) | instid1(VALU_DEP_1)
	v_and_b32_e32 v0, v17, v19
	v_mad_u32 v7, v0, 24, v7
	global_load_b64 v[16:17], v[6:7], off scope:SCOPE_SYS
	s_wait_xcnt 0x0
	s_wait_loadcnt 0x0
	global_atomic_cmpswap_b64 v[6:7], v1, v[16:19], s[12:13] offset:24 th:TH_ATOMIC_RETURN scope:SCOPE_SYS
	s_wait_loadcnt 0x0
	global_inv scope:SCOPE_SYS
	v_cmp_eq_u64_e32 vcc_lo, v[6:7], v[18:19]
	s_or_b32 s15, vcc_lo, s15
	s_wait_xcnt 0x0
	s_and_not1_b32 exec_lo, exec_lo, s15
	s_cbranch_execnz .LBB5_191
; %bb.192:                              ;   in Loop: Header=BB5_3 Depth=1
	s_or_b32 exec_lo, exec_lo, s15
.LBB5_193:                              ;   in Loop: Header=BB5_3 Depth=1
	s_delay_alu instid0(SALU_CYCLE_1)
	s_or_b32 exec_lo, exec_lo, s14
.LBB5_194:                              ;   in Loop: Header=BB5_3 Depth=1
	s_delay_alu instid0(SALU_CYCLE_1)
	s_or_b32 exec_lo, exec_lo, s3
	global_load_b64 v[22:23], v1, s[12:13] offset:40
	s_wait_loadcnt 0x1
	global_load_b128 v[16:19], v1, s[12:13]
	v_readfirstlane_b32 s14, v6
	v_readfirstlane_b32 s15, v7
	s_mov_b32 s3, exec_lo
	s_wait_loadcnt 0x1
	v_and_b32_e32 v22, s14, v22
	v_and_b32_e32 v23, s15, v23
	s_delay_alu instid0(VALU_DEP_1) | instskip(SKIP_1) | instid1(VALU_DEP_1)
	v_mul_u64_e32 v[6:7], 24, v[22:23]
	s_wait_loadcnt 0x0
	v_add_nc_u64_e32 v[6:7], v[16:17], v[6:7]
	s_wait_xcnt 0x0
	s_and_saveexec_b32 s16, s2
	s_cbranch_execz .LBB5_196
; %bb.195:                              ;   in Loop: Header=BB5_3 Depth=1
	v_mov_b32_e32 v0, s3
	global_store_b128 v[6:7], v[0:3], off offset:8
.LBB5_196:                              ;   in Loop: Header=BB5_3 Depth=1
	s_wait_xcnt 0x0
	s_or_b32 exec_lo, exec_lo, s16
	v_lshlrev_b64_e32 v[22:23], 12, v[22:23]
	v_mov_b64_e32 v[28:29], s[6:7]
	v_mov_b64_e32 v[26:27], s[4:5]
	v_and_or_b32 v20, 0xffffff1f, v20, 32
	s_delay_alu instid0(VALU_DEP_4) | instskip(SKIP_1) | instid1(VALU_DEP_2)
	v_add_nc_u64_e32 v[24:25], v[18:19], v[22:23]
	v_dual_mov_b32 v22, v1 :: v_dual_mov_b32 v23, v1
	v_readfirstlane_b32 s16, v24
	s_delay_alu instid0(VALU_DEP_3)
	v_readfirstlane_b32 s17, v25
	s_clause 0x3
	global_store_b128 v46, v[20:23], s[16:17]
	global_store_b128 v46, v[26:29], s[16:17] offset:16
	global_store_b128 v46, v[26:29], s[16:17] offset:32
	global_store_b128 v46, v[26:29], s[16:17] offset:48
	s_wait_xcnt 0x0
	s_and_saveexec_b32 s3, s2
	s_cbranch_execz .LBB5_204
; %bb.197:                              ;   in Loop: Header=BB5_3 Depth=1
	s_clause 0x1
	global_load_b64 v[28:29], v1, s[12:13] offset:32 scope:SCOPE_SYS
	global_load_b64 v[18:19], v1, s[12:13] offset:40
	s_mov_b32 s16, exec_lo
	v_dual_mov_b32 v26, s14 :: v_dual_mov_b32 v27, s15
	s_wait_loadcnt 0x0
	v_and_b32_e32 v19, s15, v19
	v_and_b32_e32 v18, s14, v18
	s_delay_alu instid0(VALU_DEP_1) | instskip(NEXT) | instid1(VALU_DEP_1)
	v_mul_u64_e32 v[18:19], 24, v[18:19]
	v_add_nc_u64_e32 v[20:21], v[16:17], v[18:19]
	global_store_b64 v[20:21], v[28:29], off
	global_wb scope:SCOPE_SYS
	s_wait_storecnt 0x0
	s_wait_xcnt 0x0
	global_atomic_cmpswap_b64 v[18:19], v1, v[26:29], s[12:13] offset:32 th:TH_ATOMIC_RETURN scope:SCOPE_SYS
	s_wait_loadcnt 0x0
	s_wait_xcnt 0x0
	v_cmpx_ne_u64_e64 v[18:19], v[28:29]
	s_cbranch_execz .LBB5_200
; %bb.198:                              ;   in Loop: Header=BB5_3 Depth=1
	s_mov_b32 s17, 0
.LBB5_199:                              ;   Parent Loop BB5_3 Depth=1
                                        ; =>  This Inner Loop Header: Depth=2
	v_dual_mov_b32 v16, s14 :: v_dual_mov_b32 v17, s15
	s_sleep 1
	global_store_b64 v[20:21], v[18:19], off
	global_wb scope:SCOPE_SYS
	s_wait_storecnt 0x0
	s_wait_xcnt 0x0
	global_atomic_cmpswap_b64 v[16:17], v1, v[16:19], s[12:13] offset:32 th:TH_ATOMIC_RETURN scope:SCOPE_SYS
	s_wait_loadcnt 0x0
	v_cmp_eq_u64_e32 vcc_lo, v[16:17], v[18:19]
	s_wait_xcnt 0x0
	v_mov_b64_e32 v[18:19], v[16:17]
	s_or_b32 s17, vcc_lo, s17
	s_delay_alu instid0(SALU_CYCLE_1)
	s_and_not1_b32 exec_lo, exec_lo, s17
	s_cbranch_execnz .LBB5_199
.LBB5_200:                              ;   in Loop: Header=BB5_3 Depth=1
	s_or_b32 exec_lo, exec_lo, s16
	global_load_b64 v[16:17], v1, s[12:13] offset:16
	s_mov_b32 s17, exec_lo
	s_mov_b32 s16, exec_lo
	v_mbcnt_lo_u32_b32 v0, s17, 0
	s_wait_xcnt 0x0
	s_delay_alu instid0(VALU_DEP_1)
	v_cmpx_eq_u32_e32 0, v0
	s_cbranch_execz .LBB5_202
; %bb.201:                              ;   in Loop: Header=BB5_3 Depth=1
	s_bcnt1_i32_b32 s17, s17
	s_delay_alu instid0(SALU_CYCLE_1)
	v_mov_b32_e32 v0, s17
	global_wb scope:SCOPE_SYS
	s_wait_loadcnt 0x0
	s_wait_storecnt 0x0
	global_atomic_add_u64 v[16:17], v[0:1], off offset:8 scope:SCOPE_SYS
.LBB5_202:                              ;   in Loop: Header=BB5_3 Depth=1
	s_wait_xcnt 0x0
	s_or_b32 exec_lo, exec_lo, s16
	s_wait_loadcnt 0x0
	global_load_b64 v[18:19], v[16:17], off offset:16
	s_wait_loadcnt 0x0
	v_cmp_eq_u64_e32 vcc_lo, 0, v[18:19]
	s_cbranch_vccnz .LBB5_204
; %bb.203:                              ;   in Loop: Header=BB5_3 Depth=1
	global_load_b32 v0, v[16:17], off offset:24
	s_wait_loadcnt 0x0
	v_readfirstlane_b32 s16, v0
	global_wb scope:SCOPE_SYS
	s_wait_storecnt 0x0
	s_wait_xcnt 0x0
	global_store_b64 v[18:19], v[0:1], off scope:SCOPE_SYS
	s_and_b32 m0, s16, 0xffffff
	s_sendmsg sendmsg(MSG_INTERRUPT)
.LBB5_204:                              ;   in Loop: Header=BB5_3 Depth=1
	s_wait_xcnt 0x0
	s_or_b32 exec_lo, exec_lo, s3
	v_mov_b32_e32 v47, v1
	s_delay_alu instid0(VALU_DEP_1)
	v_add_nc_u64_e32 v[16:17], v[24:25], v[46:47]
	s_branch .LBB5_208
.LBB5_205:                              ;   in Loop: Header=BB5_208 Depth=2
	s_wait_xcnt 0x0
	s_or_b32 exec_lo, exec_lo, s3
	s_delay_alu instid0(VALU_DEP_1)
	v_readfirstlane_b32 s3, v0
	s_cmp_eq_u32 s3, 0
	s_cbranch_scc1 .LBB5_207
; %bb.206:                              ;   in Loop: Header=BB5_208 Depth=2
	s_sleep 1
	s_cbranch_execnz .LBB5_208
	s_branch .LBB5_210
.LBB5_207:                              ;   in Loop: Header=BB5_3 Depth=1
	s_branch .LBB5_210
.LBB5_208:                              ;   Parent Loop BB5_3 Depth=1
                                        ; =>  This Inner Loop Header: Depth=2
	v_mov_b32_e32 v0, 1
	s_and_saveexec_b32 s3, s2
	s_cbranch_execz .LBB5_205
; %bb.209:                              ;   in Loop: Header=BB5_208 Depth=2
	global_load_b32 v0, v[6:7], off offset:20 scope:SCOPE_SYS
	s_wait_loadcnt 0x0
	global_inv scope:SCOPE_SYS
	v_and_b32_e32 v0, 1, v0
	s_branch .LBB5_205
.LBB5_210:                              ;   in Loop: Header=BB5_3 Depth=1
	global_load_b64 v[16:17], v[16:17], off
	s_wait_xcnt 0x0
	s_and_saveexec_b32 s16, s2
	s_cbranch_execz .LBB5_214
; %bb.211:                              ;   in Loop: Header=BB5_3 Depth=1
	s_clause 0x2
	global_load_b64 v[6:7], v1, s[12:13] offset:40
	global_load_b64 v[22:23], v1, s[12:13] offset:24 scope:SCOPE_SYS
	global_load_b64 v[18:19], v1, s[12:13]
	s_wait_loadcnt 0x2
	v_readfirstlane_b32 s18, v6
	v_readfirstlane_b32 s19, v7
	s_add_nc_u64 s[2:3], s[18:19], 1
	s_delay_alu instid0(SALU_CYCLE_1) | instskip(NEXT) | instid1(SALU_CYCLE_1)
	s_add_nc_u64 s[14:15], s[2:3], s[14:15]
	s_cmp_eq_u64 s[14:15], 0
	s_cselect_b32 s3, s3, s15
	s_cselect_b32 s2, s2, s14
	s_delay_alu instid0(SALU_CYCLE_1) | instskip(SKIP_1) | instid1(SALU_CYCLE_1)
	v_dual_mov_b32 v21, s3 :: v_dual_mov_b32 v20, s2
	s_and_b64 s[14:15], s[2:3], s[18:19]
	s_mul_u64 s[14:15], s[14:15], 24
	s_wait_loadcnt 0x0
	v_add_nc_u64_e32 v[6:7], s[14:15], v[18:19]
	global_store_b64 v[6:7], v[22:23], off
	global_wb scope:SCOPE_SYS
	s_wait_storecnt 0x0
	s_wait_xcnt 0x0
	global_atomic_cmpswap_b64 v[20:21], v1, v[20:23], s[12:13] offset:24 th:TH_ATOMIC_RETURN scope:SCOPE_SYS
	s_wait_loadcnt 0x0
	v_cmp_ne_u64_e32 vcc_lo, v[20:21], v[22:23]
	s_wait_xcnt 0x0
	s_and_b32 exec_lo, exec_lo, vcc_lo
	s_cbranch_execz .LBB5_214
; %bb.212:                              ;   in Loop: Header=BB5_3 Depth=1
	s_mov_b32 s14, 0
.LBB5_213:                              ;   Parent Loop BB5_3 Depth=1
                                        ; =>  This Inner Loop Header: Depth=2
	v_dual_mov_b32 v18, s2 :: v_dual_mov_b32 v19, s3
	s_sleep 1
	global_store_b64 v[6:7], v[20:21], off
	global_wb scope:SCOPE_SYS
	s_wait_storecnt 0x0
	s_wait_xcnt 0x0
	global_atomic_cmpswap_b64 v[18:19], v1, v[18:21], s[12:13] offset:24 th:TH_ATOMIC_RETURN scope:SCOPE_SYS
	s_wait_loadcnt 0x0
	v_cmp_eq_u64_e32 vcc_lo, v[18:19], v[20:21]
	s_wait_xcnt 0x0
	v_mov_b64_e32 v[20:21], v[18:19]
	s_or_b32 s14, vcc_lo, s14
	s_delay_alu instid0(SALU_CYCLE_1)
	s_and_not1_b32 exec_lo, exec_lo, s14
	s_cbranch_execnz .LBB5_213
.LBB5_214:                              ;   in Loop: Header=BB5_3 Depth=1
	s_or_b32 exec_lo, exec_lo, s16
	s_delay_alu instid0(SALU_CYCLE_1)
	s_and_b32 vcc_lo, exec_lo, s26
	s_cbranch_vccnz .LBB5_109
.LBB5_215:                              ;   in Loop: Header=BB5_3 Depth=1
                                        ; implicit-def: $vgpr18_vgpr19
	s_cbranch_execz .LBB5_243
; %bb.216:                              ;   in Loop: Header=BB5_3 Depth=1
	v_readfirstlane_b32 s2, v38
	v_mov_b64_e32 v[6:7], 0
	s_delay_alu instid0(VALU_DEP_2)
	v_cmp_eq_u32_e64 s2, s2, v38
	s_and_saveexec_b32 s3, s2
	s_cbranch_execz .LBB5_222
; %bb.217:                              ;   in Loop: Header=BB5_3 Depth=1
	s_wait_loadcnt 0x0
	global_load_b64 v[20:21], v1, s[12:13] offset:24 scope:SCOPE_SYS
	s_wait_loadcnt 0x0
	global_inv scope:SCOPE_SYS
	s_clause 0x1
	global_load_b64 v[6:7], v1, s[12:13] offset:40
	global_load_b64 v[18:19], v1, s[12:13]
	s_mov_b32 s14, exec_lo
	s_wait_loadcnt 0x1
	v_and_b32_e32 v6, v6, v20
	v_and_b32_e32 v7, v7, v21
	s_delay_alu instid0(VALU_DEP_1) | instskip(SKIP_1) | instid1(VALU_DEP_1)
	v_mul_u64_e32 v[6:7], 24, v[6:7]
	s_wait_loadcnt 0x0
	v_add_nc_u64_e32 v[6:7], v[18:19], v[6:7]
	global_load_b64 v[18:19], v[6:7], off scope:SCOPE_SYS
	s_wait_xcnt 0x0
	s_wait_loadcnt 0x0
	global_atomic_cmpswap_b64 v[6:7], v1, v[18:21], s[12:13] offset:24 th:TH_ATOMIC_RETURN scope:SCOPE_SYS
	s_wait_loadcnt 0x0
	global_inv scope:SCOPE_SYS
	s_wait_xcnt 0x0
	v_cmpx_ne_u64_e64 v[6:7], v[20:21]
	s_cbranch_execz .LBB5_221
; %bb.218:                              ;   in Loop: Header=BB5_3 Depth=1
	s_mov_b32 s15, 0
.LBB5_219:                              ;   Parent Loop BB5_3 Depth=1
                                        ; =>  This Inner Loop Header: Depth=2
	s_sleep 1
	s_clause 0x1
	global_load_b64 v[18:19], v1, s[12:13] offset:40
	global_load_b64 v[22:23], v1, s[12:13]
	v_mov_b64_e32 v[20:21], v[6:7]
	s_wait_loadcnt 0x1
	s_delay_alu instid0(VALU_DEP_1) | instskip(SKIP_1) | instid1(VALU_DEP_1)
	v_and_b32_e32 v0, v18, v20
	s_wait_loadcnt 0x0
	v_mad_nc_u64_u32 v[6:7], v0, 24, v[22:23]
	s_delay_alu instid0(VALU_DEP_3) | instskip(NEXT) | instid1(VALU_DEP_1)
	v_and_b32_e32 v0, v19, v21
	v_mad_u32 v7, v0, 24, v7
	global_load_b64 v[18:19], v[6:7], off scope:SCOPE_SYS
	s_wait_xcnt 0x0
	s_wait_loadcnt 0x0
	global_atomic_cmpswap_b64 v[6:7], v1, v[18:21], s[12:13] offset:24 th:TH_ATOMIC_RETURN scope:SCOPE_SYS
	s_wait_loadcnt 0x0
	global_inv scope:SCOPE_SYS
	v_cmp_eq_u64_e32 vcc_lo, v[6:7], v[20:21]
	s_or_b32 s15, vcc_lo, s15
	s_wait_xcnt 0x0
	s_and_not1_b32 exec_lo, exec_lo, s15
	s_cbranch_execnz .LBB5_219
; %bb.220:                              ;   in Loop: Header=BB5_3 Depth=1
	s_or_b32 exec_lo, exec_lo, s15
.LBB5_221:                              ;   in Loop: Header=BB5_3 Depth=1
	s_delay_alu instid0(SALU_CYCLE_1)
	s_or_b32 exec_lo, exec_lo, s14
.LBB5_222:                              ;   in Loop: Header=BB5_3 Depth=1
	s_delay_alu instid0(SALU_CYCLE_1)
	s_or_b32 exec_lo, exec_lo, s3
	s_wait_loadcnt 0x0
	s_clause 0x1
	global_load_b64 v[18:19], v1, s[12:13] offset:40
	global_load_b128 v[20:23], v1, s[12:13]
	v_readfirstlane_b32 s14, v6
	v_readfirstlane_b32 s15, v7
	s_mov_b32 s3, exec_lo
	s_wait_loadcnt 0x1
	v_and_b32_e32 v18, s14, v18
	v_and_b32_e32 v19, s15, v19
	s_delay_alu instid0(VALU_DEP_1) | instskip(SKIP_1) | instid1(VALU_DEP_1)
	v_mul_u64_e32 v[6:7], 24, v[18:19]
	s_wait_loadcnt 0x0
	v_add_nc_u64_e32 v[6:7], v[20:21], v[6:7]
	s_wait_xcnt 0x0
	s_and_saveexec_b32 s16, s2
	s_cbranch_execz .LBB5_224
; %bb.223:                              ;   in Loop: Header=BB5_3 Depth=1
	v_mov_b32_e32 v0, s3
	global_store_b128 v[6:7], v[0:3], off offset:8
.LBB5_224:                              ;   in Loop: Header=BB5_3 Depth=1
	s_wait_xcnt 0x0
	s_or_b32 exec_lo, exec_lo, s16
	v_lshlrev_b64_e32 v[18:19], 12, v[18:19]
	v_mov_b64_e32 v[26:27], s[6:7]
	v_mov_b64_e32 v[24:25], s[4:5]
	v_and_or_b32 v16, 0xffffff1f, v16, 32
	s_delay_alu instid0(VALU_DEP_4) | instskip(SKIP_1) | instid1(VALU_DEP_2)
	v_add_nc_u64_e32 v[22:23], v[22:23], v[18:19]
	v_dual_mov_b32 v18, v1 :: v_dual_mov_b32 v19, v1
	v_readfirstlane_b32 s16, v22
	s_delay_alu instid0(VALU_DEP_3)
	v_readfirstlane_b32 s17, v23
	s_clause 0x3
	global_store_b128 v46, v[16:19], s[16:17]
	global_store_b128 v46, v[24:27], s[16:17] offset:16
	global_store_b128 v46, v[24:27], s[16:17] offset:32
	global_store_b128 v46, v[24:27], s[16:17] offset:48
	s_wait_xcnt 0x0
	s_and_saveexec_b32 s3, s2
	s_cbranch_execz .LBB5_232
; %bb.225:                              ;   in Loop: Header=BB5_3 Depth=1
	s_clause 0x1
	global_load_b64 v[26:27], v1, s[12:13] offset:32 scope:SCOPE_SYS
	global_load_b64 v[16:17], v1, s[12:13] offset:40
	s_mov_b32 s16, exec_lo
	v_dual_mov_b32 v24, s14 :: v_dual_mov_b32 v25, s15
	s_wait_loadcnt 0x0
	v_and_b32_e32 v17, s15, v17
	v_and_b32_e32 v16, s14, v16
	s_delay_alu instid0(VALU_DEP_1) | instskip(NEXT) | instid1(VALU_DEP_1)
	v_mul_u64_e32 v[16:17], 24, v[16:17]
	v_add_nc_u64_e32 v[20:21], v[20:21], v[16:17]
	global_store_b64 v[20:21], v[26:27], off
	global_wb scope:SCOPE_SYS
	s_wait_storecnt 0x0
	s_wait_xcnt 0x0
	global_atomic_cmpswap_b64 v[18:19], v1, v[24:27], s[12:13] offset:32 th:TH_ATOMIC_RETURN scope:SCOPE_SYS
	s_wait_loadcnt 0x0
	s_wait_xcnt 0x0
	v_cmpx_ne_u64_e64 v[18:19], v[26:27]
	s_cbranch_execz .LBB5_228
; %bb.226:                              ;   in Loop: Header=BB5_3 Depth=1
	s_mov_b32 s17, 0
.LBB5_227:                              ;   Parent Loop BB5_3 Depth=1
                                        ; =>  This Inner Loop Header: Depth=2
	v_dual_mov_b32 v16, s14 :: v_dual_mov_b32 v17, s15
	s_sleep 1
	global_store_b64 v[20:21], v[18:19], off
	global_wb scope:SCOPE_SYS
	s_wait_storecnt 0x0
	s_wait_xcnt 0x0
	global_atomic_cmpswap_b64 v[16:17], v1, v[16:19], s[12:13] offset:32 th:TH_ATOMIC_RETURN scope:SCOPE_SYS
	s_wait_loadcnt 0x0
	v_cmp_eq_u64_e32 vcc_lo, v[16:17], v[18:19]
	s_wait_xcnt 0x0
	v_mov_b64_e32 v[18:19], v[16:17]
	s_or_b32 s17, vcc_lo, s17
	s_delay_alu instid0(SALU_CYCLE_1)
	s_and_not1_b32 exec_lo, exec_lo, s17
	s_cbranch_execnz .LBB5_227
.LBB5_228:                              ;   in Loop: Header=BB5_3 Depth=1
	s_or_b32 exec_lo, exec_lo, s16
	global_load_b64 v[16:17], v1, s[12:13] offset:16
	s_mov_b32 s17, exec_lo
	s_mov_b32 s16, exec_lo
	v_mbcnt_lo_u32_b32 v0, s17, 0
	s_wait_xcnt 0x0
	s_delay_alu instid0(VALU_DEP_1)
	v_cmpx_eq_u32_e32 0, v0
	s_cbranch_execz .LBB5_230
; %bb.229:                              ;   in Loop: Header=BB5_3 Depth=1
	s_bcnt1_i32_b32 s17, s17
	s_delay_alu instid0(SALU_CYCLE_1)
	v_mov_b32_e32 v0, s17
	global_wb scope:SCOPE_SYS
	s_wait_loadcnt 0x0
	s_wait_storecnt 0x0
	global_atomic_add_u64 v[16:17], v[0:1], off offset:8 scope:SCOPE_SYS
.LBB5_230:                              ;   in Loop: Header=BB5_3 Depth=1
	s_wait_xcnt 0x0
	s_or_b32 exec_lo, exec_lo, s16
	s_wait_loadcnt 0x0
	global_load_b64 v[18:19], v[16:17], off offset:16
	s_wait_loadcnt 0x0
	v_cmp_eq_u64_e32 vcc_lo, 0, v[18:19]
	s_cbranch_vccnz .LBB5_232
; %bb.231:                              ;   in Loop: Header=BB5_3 Depth=1
	global_load_b32 v0, v[16:17], off offset:24
	s_wait_loadcnt 0x0
	v_readfirstlane_b32 s16, v0
	global_wb scope:SCOPE_SYS
	s_wait_storecnt 0x0
	s_wait_xcnt 0x0
	global_store_b64 v[18:19], v[0:1], off scope:SCOPE_SYS
	s_and_b32 m0, s16, 0xffffff
	s_sendmsg sendmsg(MSG_INTERRUPT)
.LBB5_232:                              ;   in Loop: Header=BB5_3 Depth=1
	s_wait_xcnt 0x0
	s_or_b32 exec_lo, exec_lo, s3
	v_mov_b32_e32 v47, v1
	s_delay_alu instid0(VALU_DEP_1)
	v_add_nc_u64_e32 v[16:17], v[22:23], v[46:47]
	s_branch .LBB5_236
.LBB5_233:                              ;   in Loop: Header=BB5_236 Depth=2
	s_wait_xcnt 0x0
	s_or_b32 exec_lo, exec_lo, s3
	s_delay_alu instid0(VALU_DEP_1)
	v_readfirstlane_b32 s3, v0
	s_cmp_eq_u32 s3, 0
	s_cbranch_scc1 .LBB5_235
; %bb.234:                              ;   in Loop: Header=BB5_236 Depth=2
	s_sleep 1
	s_cbranch_execnz .LBB5_236
	s_branch .LBB5_238
.LBB5_235:                              ;   in Loop: Header=BB5_3 Depth=1
	s_branch .LBB5_238
.LBB5_236:                              ;   Parent Loop BB5_3 Depth=1
                                        ; =>  This Inner Loop Header: Depth=2
	v_mov_b32_e32 v0, 1
	s_and_saveexec_b32 s3, s2
	s_cbranch_execz .LBB5_233
; %bb.237:                              ;   in Loop: Header=BB5_236 Depth=2
	global_load_b32 v0, v[6:7], off offset:20 scope:SCOPE_SYS
	s_wait_loadcnt 0x0
	global_inv scope:SCOPE_SYS
	v_and_b32_e32 v0, 1, v0
	s_branch .LBB5_233
.LBB5_238:                              ;   in Loop: Header=BB5_3 Depth=1
	global_load_b64 v[18:19], v[16:17], off
	s_wait_xcnt 0x0
	s_and_saveexec_b32 s16, s2
	s_cbranch_execz .LBB5_242
; %bb.239:                              ;   in Loop: Header=BB5_3 Depth=1
	s_clause 0x2
	global_load_b64 v[6:7], v1, s[12:13] offset:40
	global_load_b64 v[24:25], v1, s[12:13] offset:24 scope:SCOPE_SYS
	global_load_b64 v[16:17], v1, s[12:13]
	s_wait_loadcnt 0x2
	v_readfirstlane_b32 s18, v6
	v_readfirstlane_b32 s19, v7
	s_add_nc_u64 s[2:3], s[18:19], 1
	s_delay_alu instid0(SALU_CYCLE_1) | instskip(NEXT) | instid1(SALU_CYCLE_1)
	s_add_nc_u64 s[14:15], s[2:3], s[14:15]
	s_cmp_eq_u64 s[14:15], 0
	s_cselect_b32 s3, s3, s15
	s_cselect_b32 s2, s2, s14
	s_delay_alu instid0(SALU_CYCLE_1) | instskip(SKIP_1) | instid1(SALU_CYCLE_1)
	v_dual_mov_b32 v23, s3 :: v_dual_mov_b32 v22, s2
	s_and_b64 s[14:15], s[2:3], s[18:19]
	s_mul_u64 s[14:15], s[14:15], 24
	s_wait_loadcnt 0x0
	v_add_nc_u64_e32 v[6:7], s[14:15], v[16:17]
	global_store_b64 v[6:7], v[24:25], off
	global_wb scope:SCOPE_SYS
	s_wait_storecnt 0x0
	s_wait_xcnt 0x0
	global_atomic_cmpswap_b64 v[22:23], v1, v[22:25], s[12:13] offset:24 th:TH_ATOMIC_RETURN scope:SCOPE_SYS
	s_wait_loadcnt 0x0
	v_cmp_ne_u64_e32 vcc_lo, v[22:23], v[24:25]
	s_wait_xcnt 0x0
	s_and_b32 exec_lo, exec_lo, vcc_lo
	s_cbranch_execz .LBB5_242
; %bb.240:                              ;   in Loop: Header=BB5_3 Depth=1
	s_mov_b32 s14, 0
.LBB5_241:                              ;   Parent Loop BB5_3 Depth=1
                                        ; =>  This Inner Loop Header: Depth=2
	v_dual_mov_b32 v20, s2 :: v_dual_mov_b32 v21, s3
	s_sleep 1
	global_store_b64 v[6:7], v[22:23], off
	global_wb scope:SCOPE_SYS
	s_wait_storecnt 0x0
	s_wait_xcnt 0x0
	global_atomic_cmpswap_b64 v[16:17], v1, v[20:23], s[12:13] offset:24 th:TH_ATOMIC_RETURN scope:SCOPE_SYS
	s_wait_loadcnt 0x0
	v_cmp_eq_u64_e32 vcc_lo, v[16:17], v[22:23]
	s_wait_xcnt 0x0
	v_mov_b64_e32 v[22:23], v[16:17]
	s_or_b32 s14, vcc_lo, s14
	s_delay_alu instid0(SALU_CYCLE_1)
	s_and_not1_b32 exec_lo, exec_lo, s14
	s_cbranch_execnz .LBB5_241
.LBB5_242:                              ;   in Loop: Header=BB5_3 Depth=1
	s_or_b32 exec_lo, exec_lo, s16
.LBB5_243:                              ;   in Loop: Header=BB5_3 Depth=1
	v_readfirstlane_b32 s2, v38
	v_mov_b64_e32 v[6:7], 0
	s_delay_alu instid0(VALU_DEP_2)
	v_cmp_eq_u32_e64 s2, s2, v38
	s_and_saveexec_b32 s3, s2
	s_cbranch_execz .LBB5_249
; %bb.244:                              ;   in Loop: Header=BB5_3 Depth=1
	global_load_b64 v[22:23], v1, s[12:13] offset:24 scope:SCOPE_SYS
	s_wait_loadcnt 0x0
	global_inv scope:SCOPE_SYS
	s_clause 0x1
	global_load_b64 v[6:7], v1, s[12:13] offset:40
	global_load_b64 v[16:17], v1, s[12:13]
	s_mov_b32 s14, exec_lo
	s_wait_loadcnt 0x1
	v_and_b32_e32 v6, v6, v22
	v_and_b32_e32 v7, v7, v23
	s_delay_alu instid0(VALU_DEP_1) | instskip(SKIP_1) | instid1(VALU_DEP_1)
	v_mul_u64_e32 v[6:7], 24, v[6:7]
	s_wait_loadcnt 0x0
	v_add_nc_u64_e32 v[6:7], v[16:17], v[6:7]
	global_load_b64 v[20:21], v[6:7], off scope:SCOPE_SYS
	s_wait_xcnt 0x0
	s_wait_loadcnt 0x0
	global_atomic_cmpswap_b64 v[6:7], v1, v[20:23], s[12:13] offset:24 th:TH_ATOMIC_RETURN scope:SCOPE_SYS
	s_wait_loadcnt 0x0
	global_inv scope:SCOPE_SYS
	s_wait_xcnt 0x0
	v_cmpx_ne_u64_e64 v[6:7], v[22:23]
	s_cbranch_execz .LBB5_248
; %bb.245:                              ;   in Loop: Header=BB5_3 Depth=1
	s_mov_b32 s15, 0
.LBB5_246:                              ;   Parent Loop BB5_3 Depth=1
                                        ; =>  This Inner Loop Header: Depth=2
	s_sleep 1
	s_clause 0x1
	global_load_b64 v[16:17], v1, s[12:13] offset:40
	global_load_b64 v[20:21], v1, s[12:13]
	v_mov_b64_e32 v[22:23], v[6:7]
	s_wait_loadcnt 0x1
	s_delay_alu instid0(VALU_DEP_1) | instskip(SKIP_1) | instid1(VALU_DEP_1)
	v_and_b32_e32 v0, v16, v22
	s_wait_loadcnt 0x0
	v_mad_nc_u64_u32 v[6:7], v0, 24, v[20:21]
	s_delay_alu instid0(VALU_DEP_3) | instskip(NEXT) | instid1(VALU_DEP_1)
	v_and_b32_e32 v0, v17, v23
	v_mad_u32 v7, v0, 24, v7
	global_load_b64 v[20:21], v[6:7], off scope:SCOPE_SYS
	s_wait_xcnt 0x0
	s_wait_loadcnt 0x0
	global_atomic_cmpswap_b64 v[6:7], v1, v[20:23], s[12:13] offset:24 th:TH_ATOMIC_RETURN scope:SCOPE_SYS
	s_wait_loadcnt 0x0
	global_inv scope:SCOPE_SYS
	v_cmp_eq_u64_e32 vcc_lo, v[6:7], v[22:23]
	s_or_b32 s15, vcc_lo, s15
	s_wait_xcnt 0x0
	s_and_not1_b32 exec_lo, exec_lo, s15
	s_cbranch_execnz .LBB5_246
; %bb.247:                              ;   in Loop: Header=BB5_3 Depth=1
	s_or_b32 exec_lo, exec_lo, s15
.LBB5_248:                              ;   in Loop: Header=BB5_3 Depth=1
	s_delay_alu instid0(SALU_CYCLE_1)
	s_or_b32 exec_lo, exec_lo, s14
.LBB5_249:                              ;   in Loop: Header=BB5_3 Depth=1
	s_delay_alu instid0(SALU_CYCLE_1)
	s_or_b32 exec_lo, exec_lo, s3
	s_wait_loadcnt 0x0
	s_clause 0x1
	global_load_b64 v[16:17], v1, s[12:13] offset:40
	global_load_b128 v[22:25], v1, s[12:13]
	v_readfirstlane_b32 s14, v6
	v_readfirstlane_b32 s15, v7
	s_mov_b32 s3, exec_lo
	s_wait_loadcnt 0x1
	v_and_b32_e32 v16, s14, v16
	v_and_b32_e32 v17, s15, v17
	s_delay_alu instid0(VALU_DEP_1) | instskip(SKIP_1) | instid1(VALU_DEP_1)
	v_mul_u64_e32 v[6:7], 24, v[16:17]
	s_wait_loadcnt 0x0
	v_add_nc_u64_e32 v[6:7], v[22:23], v[6:7]
	s_wait_xcnt 0x0
	s_and_saveexec_b32 s16, s2
	s_cbranch_execz .LBB5_251
; %bb.250:                              ;   in Loop: Header=BB5_3 Depth=1
	v_mov_b32_e32 v0, s3
	global_store_b128 v[6:7], v[0:3], off offset:8
.LBB5_251:                              ;   in Loop: Header=BB5_3 Depth=1
	s_wait_xcnt 0x0
	s_or_b32 exec_lo, exec_lo, s16
	v_lshlrev_b64_e32 v[16:17], 12, v[16:17]
	v_mov_b64_e32 v[28:29], s[6:7]
	v_mov_b64_e32 v[26:27], s[4:5]
	v_and_or_b32 v18, 0xffffff1d, v18, 34
	v_dual_mov_b32 v20, v5 :: v_dual_mov_b32 v21, v1
	v_add_nc_u64_e32 v[24:25], v[24:25], v[16:17]
	s_delay_alu instid0(VALU_DEP_1) | instskip(NEXT) | instid1(VALU_DEP_2)
	v_readfirstlane_b32 s16, v24
	v_readfirstlane_b32 s17, v25
	s_clause 0x3
	global_store_b128 v46, v[18:21], s[16:17]
	global_store_b128 v46, v[26:29], s[16:17] offset:16
	global_store_b128 v46, v[26:29], s[16:17] offset:32
	;; [unrolled: 1-line block ×3, first 2 shown]
	s_wait_xcnt 0x0
	s_and_saveexec_b32 s3, s2
	s_cbranch_execz .LBB5_259
; %bb.252:                              ;   in Loop: Header=BB5_3 Depth=1
	s_clause 0x1
	global_load_b64 v[28:29], v1, s[12:13] offset:32 scope:SCOPE_SYS
	global_load_b64 v[16:17], v1, s[12:13] offset:40
	s_mov_b32 s16, exec_lo
	v_dual_mov_b32 v26, s14 :: v_dual_mov_b32 v27, s15
	s_wait_loadcnt 0x0
	v_and_b32_e32 v17, s15, v17
	v_and_b32_e32 v16, s14, v16
	s_delay_alu instid0(VALU_DEP_1) | instskip(NEXT) | instid1(VALU_DEP_1)
	v_mul_u64_e32 v[16:17], 24, v[16:17]
	v_add_nc_u64_e32 v[20:21], v[22:23], v[16:17]
	global_store_b64 v[20:21], v[28:29], off
	global_wb scope:SCOPE_SYS
	s_wait_storecnt 0x0
	s_wait_xcnt 0x0
	global_atomic_cmpswap_b64 v[18:19], v1, v[26:29], s[12:13] offset:32 th:TH_ATOMIC_RETURN scope:SCOPE_SYS
	s_wait_loadcnt 0x0
	s_wait_xcnt 0x0
	v_cmpx_ne_u64_e64 v[18:19], v[28:29]
	s_cbranch_execz .LBB5_255
; %bb.253:                              ;   in Loop: Header=BB5_3 Depth=1
	s_mov_b32 s17, 0
.LBB5_254:                              ;   Parent Loop BB5_3 Depth=1
                                        ; =>  This Inner Loop Header: Depth=2
	v_dual_mov_b32 v16, s14 :: v_dual_mov_b32 v17, s15
	s_sleep 1
	global_store_b64 v[20:21], v[18:19], off
	global_wb scope:SCOPE_SYS
	s_wait_storecnt 0x0
	s_wait_xcnt 0x0
	global_atomic_cmpswap_b64 v[16:17], v1, v[16:19], s[12:13] offset:32 th:TH_ATOMIC_RETURN scope:SCOPE_SYS
	s_wait_loadcnt 0x0
	v_cmp_eq_u64_e32 vcc_lo, v[16:17], v[18:19]
	s_wait_xcnt 0x0
	v_mov_b64_e32 v[18:19], v[16:17]
	s_or_b32 s17, vcc_lo, s17
	s_delay_alu instid0(SALU_CYCLE_1)
	s_and_not1_b32 exec_lo, exec_lo, s17
	s_cbranch_execnz .LBB5_254
.LBB5_255:                              ;   in Loop: Header=BB5_3 Depth=1
	s_or_b32 exec_lo, exec_lo, s16
	global_load_b64 v[16:17], v1, s[12:13] offset:16
	s_mov_b32 s17, exec_lo
	s_mov_b32 s16, exec_lo
	v_mbcnt_lo_u32_b32 v0, s17, 0
	s_wait_xcnt 0x0
	s_delay_alu instid0(VALU_DEP_1)
	v_cmpx_eq_u32_e32 0, v0
	s_cbranch_execz .LBB5_257
; %bb.256:                              ;   in Loop: Header=BB5_3 Depth=1
	s_bcnt1_i32_b32 s17, s17
	s_delay_alu instid0(SALU_CYCLE_1)
	v_mov_b32_e32 v0, s17
	global_wb scope:SCOPE_SYS
	s_wait_loadcnt 0x0
	s_wait_storecnt 0x0
	global_atomic_add_u64 v[16:17], v[0:1], off offset:8 scope:SCOPE_SYS
.LBB5_257:                              ;   in Loop: Header=BB5_3 Depth=1
	s_wait_xcnt 0x0
	s_or_b32 exec_lo, exec_lo, s16
	s_wait_loadcnt 0x0
	global_load_b64 v[18:19], v[16:17], off offset:16
	s_wait_loadcnt 0x0
	v_cmp_eq_u64_e32 vcc_lo, 0, v[18:19]
	s_cbranch_vccnz .LBB5_259
; %bb.258:                              ;   in Loop: Header=BB5_3 Depth=1
	global_load_b32 v0, v[16:17], off offset:24
	s_wait_loadcnt 0x0
	v_readfirstlane_b32 s16, v0
	global_wb scope:SCOPE_SYS
	s_wait_storecnt 0x0
	s_wait_xcnt 0x0
	global_store_b64 v[18:19], v[0:1], off scope:SCOPE_SYS
	s_and_b32 m0, s16, 0xffffff
	s_sendmsg sendmsg(MSG_INTERRUPT)
.LBB5_259:                              ;   in Loop: Header=BB5_3 Depth=1
	s_wait_xcnt 0x0
	s_or_b32 exec_lo, exec_lo, s3
	v_mov_b32_e32 v47, v1
	s_delay_alu instid0(VALU_DEP_1)
	v_add_nc_u64_e32 v[16:17], v[24:25], v[46:47]
	s_branch .LBB5_263
.LBB5_260:                              ;   in Loop: Header=BB5_263 Depth=2
	s_wait_xcnt 0x0
	s_or_b32 exec_lo, exec_lo, s3
	s_delay_alu instid0(VALU_DEP_1)
	v_readfirstlane_b32 s3, v0
	s_cmp_eq_u32 s3, 0
	s_cbranch_scc1 .LBB5_262
; %bb.261:                              ;   in Loop: Header=BB5_263 Depth=2
	s_sleep 1
	s_cbranch_execnz .LBB5_263
	s_branch .LBB5_265
.LBB5_262:                              ;   in Loop: Header=BB5_3 Depth=1
	s_branch .LBB5_265
.LBB5_263:                              ;   Parent Loop BB5_3 Depth=1
                                        ; =>  This Inner Loop Header: Depth=2
	v_mov_b32_e32 v0, 1
	s_and_saveexec_b32 s3, s2
	s_cbranch_execz .LBB5_260
; %bb.264:                              ;   in Loop: Header=BB5_263 Depth=2
	global_load_b32 v0, v[6:7], off offset:20 scope:SCOPE_SYS
	s_wait_loadcnt 0x0
	global_inv scope:SCOPE_SYS
	v_and_b32_e32 v0, 1, v0
	s_branch .LBB5_260
.LBB5_265:                              ;   in Loop: Header=BB5_3 Depth=1
	global_load_b64 v[50:51], v[16:17], off
	s_wait_xcnt 0x0
	s_and_saveexec_b32 s16, s2
	s_cbranch_execz .LBB5_269
; %bb.266:                              ;   in Loop: Header=BB5_3 Depth=1
	s_clause 0x2
	global_load_b64 v[6:7], v1, s[12:13] offset:40
	global_load_b64 v[20:21], v1, s[12:13] offset:24 scope:SCOPE_SYS
	global_load_b64 v[16:17], v1, s[12:13]
	s_wait_loadcnt 0x2
	v_readfirstlane_b32 s18, v6
	v_readfirstlane_b32 s19, v7
	s_add_nc_u64 s[2:3], s[18:19], 1
	s_delay_alu instid0(SALU_CYCLE_1) | instskip(NEXT) | instid1(SALU_CYCLE_1)
	s_add_nc_u64 s[14:15], s[2:3], s[14:15]
	s_cmp_eq_u64 s[14:15], 0
	s_cselect_b32 s3, s3, s15
	s_cselect_b32 s2, s2, s14
	s_delay_alu instid0(SALU_CYCLE_1) | instskip(SKIP_1) | instid1(SALU_CYCLE_1)
	v_dual_mov_b32 v19, s3 :: v_dual_mov_b32 v18, s2
	s_and_b64 s[14:15], s[2:3], s[18:19]
	s_mul_u64 s[14:15], s[14:15], 24
	s_wait_loadcnt 0x0
	v_add_nc_u64_e32 v[6:7], s[14:15], v[16:17]
	global_store_b64 v[6:7], v[20:21], off
	global_wb scope:SCOPE_SYS
	s_wait_storecnt 0x0
	s_wait_xcnt 0x0
	global_atomic_cmpswap_b64 v[18:19], v1, v[18:21], s[12:13] offset:24 th:TH_ATOMIC_RETURN scope:SCOPE_SYS
	s_wait_loadcnt 0x0
	v_cmp_ne_u64_e32 vcc_lo, v[18:19], v[20:21]
	s_wait_xcnt 0x0
	s_and_b32 exec_lo, exec_lo, vcc_lo
	s_cbranch_execz .LBB5_269
; %bb.267:                              ;   in Loop: Header=BB5_3 Depth=1
	s_mov_b32 s14, 0
.LBB5_268:                              ;   Parent Loop BB5_3 Depth=1
                                        ; =>  This Inner Loop Header: Depth=2
	v_dual_mov_b32 v16, s2 :: v_dual_mov_b32 v17, s3
	s_sleep 1
	global_store_b64 v[6:7], v[18:19], off
	global_wb scope:SCOPE_SYS
	s_wait_storecnt 0x0
	s_wait_xcnt 0x0
	global_atomic_cmpswap_b64 v[16:17], v1, v[16:19], s[12:13] offset:24 th:TH_ATOMIC_RETURN scope:SCOPE_SYS
	s_wait_loadcnt 0x0
	v_cmp_eq_u64_e32 vcc_lo, v[16:17], v[18:19]
	s_wait_xcnt 0x0
	v_mov_b64_e32 v[18:19], v[16:17]
	s_or_b32 s14, vcc_lo, s14
	s_delay_alu instid0(SALU_CYCLE_1)
	s_and_not1_b32 exec_lo, exec_lo, s14
	s_cbranch_execnz .LBB5_268
.LBB5_269:                              ;   in Loop: Header=BB5_3 Depth=1
	s_or_b32 exec_lo, exec_lo, s16
	scratch_load_b32 v0, off, off
	v_readfirstlane_b32 s2, v38
	v_mov_b64_e32 v[6:7], 0
	s_delay_alu instid0(VALU_DEP_2)
	v_cmp_eq_u32_e64 s2, s2, v38
	s_wait_loadcnt 0x0
	scratch_store_b32 off, v0, off offset:4
	s_wait_xcnt 0x0
	flat_atomic_add_u32 v[42:43], v39 scope:SCOPE_DEV
	scratch_load_b32 v51, off, off offset:4
	s_wait_xcnt 0x0
	s_and_saveexec_b32 s3, s2
	s_cbranch_execz .LBB5_275
; %bb.270:                              ;   in Loop: Header=BB5_3 Depth=1
	global_load_b64 v[18:19], v1, s[12:13] offset:24 scope:SCOPE_SYS
	s_wait_loadcnt 0x0
	global_inv scope:SCOPE_SYS
	s_clause 0x1
	global_load_b64 v[6:7], v1, s[12:13] offset:40
	global_load_b64 v[16:17], v1, s[12:13]
	s_mov_b32 s14, exec_lo
	s_wait_loadcnt 0x1
	v_and_b32_e32 v6, v6, v18
	v_and_b32_e32 v7, v7, v19
	s_delay_alu instid0(VALU_DEP_1) | instskip(SKIP_1) | instid1(VALU_DEP_1)
	v_mul_u64_e32 v[6:7], 24, v[6:7]
	s_wait_loadcnt 0x0
	v_add_nc_u64_e32 v[6:7], v[16:17], v[6:7]
	global_load_b64 v[16:17], v[6:7], off scope:SCOPE_SYS
	s_wait_xcnt 0x0
	s_wait_loadcnt 0x0
	global_atomic_cmpswap_b64 v[6:7], v1, v[16:19], s[12:13] offset:24 th:TH_ATOMIC_RETURN scope:SCOPE_SYS
	s_wait_loadcnt 0x0
	global_inv scope:SCOPE_SYS
	s_wait_xcnt 0x0
	v_cmpx_ne_u64_e64 v[6:7], v[18:19]
	s_cbranch_execz .LBB5_274
; %bb.271:                              ;   in Loop: Header=BB5_3 Depth=1
	s_mov_b32 s15, 0
.LBB5_272:                              ;   Parent Loop BB5_3 Depth=1
                                        ; =>  This Inner Loop Header: Depth=2
	s_sleep 1
	s_clause 0x1
	global_load_b64 v[16:17], v1, s[12:13] offset:40
	global_load_b64 v[20:21], v1, s[12:13]
	v_mov_b64_e32 v[18:19], v[6:7]
	s_wait_loadcnt 0x1
	s_delay_alu instid0(VALU_DEP_1) | instskip(SKIP_1) | instid1(VALU_DEP_1)
	v_and_b32_e32 v0, v16, v18
	s_wait_loadcnt 0x0
	v_mad_nc_u64_u32 v[6:7], v0, 24, v[20:21]
	s_delay_alu instid0(VALU_DEP_3) | instskip(NEXT) | instid1(VALU_DEP_1)
	v_and_b32_e32 v0, v17, v19
	v_mad_u32 v7, v0, 24, v7
	global_load_b64 v[16:17], v[6:7], off scope:SCOPE_SYS
	s_wait_xcnt 0x0
	s_wait_loadcnt 0x0
	global_atomic_cmpswap_b64 v[6:7], v1, v[16:19], s[12:13] offset:24 th:TH_ATOMIC_RETURN scope:SCOPE_SYS
	s_wait_loadcnt 0x0
	global_inv scope:SCOPE_SYS
	v_cmp_eq_u64_e32 vcc_lo, v[6:7], v[18:19]
	s_or_b32 s15, vcc_lo, s15
	s_wait_xcnt 0x0
	s_and_not1_b32 exec_lo, exec_lo, s15
	s_cbranch_execnz .LBB5_272
; %bb.273:                              ;   in Loop: Header=BB5_3 Depth=1
	s_or_b32 exec_lo, exec_lo, s15
.LBB5_274:                              ;   in Loop: Header=BB5_3 Depth=1
	s_delay_alu instid0(SALU_CYCLE_1)
	s_or_b32 exec_lo, exec_lo, s14
.LBB5_275:                              ;   in Loop: Header=BB5_3 Depth=1
	s_delay_alu instid0(SALU_CYCLE_1)
	s_or_b32 exec_lo, exec_lo, s3
	s_clause 0x1
	global_load_b64 v[20:21], v1, s[12:13] offset:40
	global_load_b128 v[16:19], v1, s[12:13]
	v_readfirstlane_b32 s14, v6
	v_readfirstlane_b32 s15, v7
	s_mov_b32 s3, exec_lo
	s_wait_loadcnt 0x1
	v_and_b32_e32 v6, s14, v20
	v_and_b32_e32 v7, s15, v21
	s_delay_alu instid0(VALU_DEP_1) | instskip(SKIP_1) | instid1(VALU_DEP_1)
	v_mul_u64_e32 v[20:21], 24, v[6:7]
	s_wait_loadcnt 0x0
	v_add_nc_u64_e32 v[20:21], v[16:17], v[20:21]
	s_wait_xcnt 0x0
	s_and_saveexec_b32 s16, s2
	s_cbranch_execz .LBB5_277
; %bb.276:                              ;   in Loop: Header=BB5_3 Depth=1
	v_mov_b32_e32 v0, s3
	global_store_b128 v[20:21], v[0:3], off offset:8
.LBB5_277:                              ;   in Loop: Header=BB5_3 Depth=1
	s_wait_xcnt 0x0
	s_or_b32 exec_lo, exec_lo, s16
	v_lshlrev_b64_e32 v[6:7], 12, v[6:7]
	v_mov_b64_e32 v[26:27], s[6:7]
	v_mov_b64_e32 v[24:25], s[4:5]
	v_mov_b32_e32 v5, v1
	s_delay_alu instid0(VALU_DEP_4) | instskip(SKIP_1) | instid1(VALU_DEP_2)
	v_add_nc_u64_e32 v[22:23], v[18:19], v[6:7]
	v_dual_mov_b32 v6, v1 :: v_dual_mov_b32 v7, v1
	v_readfirstlane_b32 s16, v22
	s_delay_alu instid0(VALU_DEP_3)
	v_readfirstlane_b32 s17, v23
	s_clause 0x3
	global_store_b128 v46, v[4:7], s[16:17]
	global_store_b128 v46, v[24:27], s[16:17] offset:16
	global_store_b128 v46, v[24:27], s[16:17] offset:32
	;; [unrolled: 1-line block ×3, first 2 shown]
	s_wait_xcnt 0x0
	s_and_saveexec_b32 s3, s2
	s_cbranch_execz .LBB5_285
; %bb.278:                              ;   in Loop: Header=BB5_3 Depth=1
	s_clause 0x1
	global_load_b64 v[26:27], v1, s[12:13] offset:32 scope:SCOPE_SYS
	global_load_b64 v[6:7], v1, s[12:13] offset:40
	s_mov_b32 s16, exec_lo
	v_dual_mov_b32 v24, s14 :: v_dual_mov_b32 v25, s15
	s_wait_loadcnt 0x0
	v_and_b32_e32 v7, s15, v7
	v_and_b32_e32 v6, s14, v6
	s_delay_alu instid0(VALU_DEP_1) | instskip(NEXT) | instid1(VALU_DEP_1)
	v_mul_u64_e32 v[6:7], 24, v[6:7]
	v_add_nc_u64_e32 v[6:7], v[16:17], v[6:7]
	global_store_b64 v[6:7], v[26:27], off
	global_wb scope:SCOPE_SYS
	s_wait_storecnt 0x0
	s_wait_xcnt 0x0
	global_atomic_cmpswap_b64 v[18:19], v1, v[24:27], s[12:13] offset:32 th:TH_ATOMIC_RETURN scope:SCOPE_SYS
	s_wait_loadcnt 0x0
	s_wait_xcnt 0x0
	v_cmpx_ne_u64_e64 v[18:19], v[26:27]
	s_cbranch_execz .LBB5_281
; %bb.279:                              ;   in Loop: Header=BB5_3 Depth=1
	s_mov_b32 s17, 0
.LBB5_280:                              ;   Parent Loop BB5_3 Depth=1
                                        ; =>  This Inner Loop Header: Depth=2
	v_dual_mov_b32 v16, s14 :: v_dual_mov_b32 v17, s15
	s_sleep 1
	global_store_b64 v[6:7], v[18:19], off
	global_wb scope:SCOPE_SYS
	s_wait_storecnt 0x0
	s_wait_xcnt 0x0
	global_atomic_cmpswap_b64 v[16:17], v1, v[16:19], s[12:13] offset:32 th:TH_ATOMIC_RETURN scope:SCOPE_SYS
	s_wait_loadcnt 0x0
	v_cmp_eq_u64_e32 vcc_lo, v[16:17], v[18:19]
	s_wait_xcnt 0x0
	v_mov_b64_e32 v[18:19], v[16:17]
	s_or_b32 s17, vcc_lo, s17
	s_delay_alu instid0(SALU_CYCLE_1)
	s_and_not1_b32 exec_lo, exec_lo, s17
	s_cbranch_execnz .LBB5_280
.LBB5_281:                              ;   in Loop: Header=BB5_3 Depth=1
	s_or_b32 exec_lo, exec_lo, s16
	global_load_b64 v[6:7], v1, s[12:13] offset:16
	s_mov_b32 s17, exec_lo
	s_mov_b32 s16, exec_lo
	v_mbcnt_lo_u32_b32 v0, s17, 0
	s_wait_xcnt 0x0
	s_delay_alu instid0(VALU_DEP_1)
	v_cmpx_eq_u32_e32 0, v0
	s_cbranch_execz .LBB5_283
; %bb.282:                              ;   in Loop: Header=BB5_3 Depth=1
	s_bcnt1_i32_b32 s17, s17
	s_delay_alu instid0(SALU_CYCLE_1)
	v_mov_b32_e32 v0, s17
	global_wb scope:SCOPE_SYS
	s_wait_loadcnt 0x0
	s_wait_storecnt 0x0
	global_atomic_add_u64 v[6:7], v[0:1], off offset:8 scope:SCOPE_SYS
.LBB5_283:                              ;   in Loop: Header=BB5_3 Depth=1
	s_wait_xcnt 0x0
	s_or_b32 exec_lo, exec_lo, s16
	s_wait_loadcnt 0x0
	global_load_b64 v[16:17], v[6:7], off offset:16
	s_wait_loadcnt 0x0
	v_cmp_eq_u64_e32 vcc_lo, 0, v[16:17]
	s_cbranch_vccnz .LBB5_285
; %bb.284:                              ;   in Loop: Header=BB5_3 Depth=1
	global_load_b32 v0, v[6:7], off offset:24
	s_wait_loadcnt 0x0
	v_readfirstlane_b32 s16, v0
	global_wb scope:SCOPE_SYS
	s_wait_storecnt 0x0
	s_wait_xcnt 0x0
	global_store_b64 v[16:17], v[0:1], off scope:SCOPE_SYS
	s_and_b32 m0, s16, 0xffffff
	s_sendmsg sendmsg(MSG_INTERRUPT)
.LBB5_285:                              ;   in Loop: Header=BB5_3 Depth=1
	s_wait_xcnt 0x0
	s_or_b32 exec_lo, exec_lo, s3
	v_mov_b32_e32 v47, v1
	s_delay_alu instid0(VALU_DEP_1)
	v_add_nc_u64_e32 v[6:7], v[22:23], v[46:47]
	s_branch .LBB5_289
.LBB5_286:                              ;   in Loop: Header=BB5_289 Depth=2
	s_wait_xcnt 0x0
	s_or_b32 exec_lo, exec_lo, s3
	s_delay_alu instid0(VALU_DEP_1)
	v_readfirstlane_b32 s3, v0
	s_cmp_eq_u32 s3, 0
	s_cbranch_scc1 .LBB5_288
; %bb.287:                              ;   in Loop: Header=BB5_289 Depth=2
	s_sleep 1
	s_cbranch_execnz .LBB5_289
	s_branch .LBB5_291
.LBB5_288:                              ;   in Loop: Header=BB5_3 Depth=1
	s_branch .LBB5_291
.LBB5_289:                              ;   Parent Loop BB5_3 Depth=1
                                        ; =>  This Inner Loop Header: Depth=2
	v_mov_b32_e32 v0, 1
	s_and_saveexec_b32 s3, s2
	s_cbranch_execz .LBB5_286
; %bb.290:                              ;   in Loop: Header=BB5_289 Depth=2
	global_load_b32 v0, v[20:21], off offset:20 scope:SCOPE_SYS
	s_wait_loadcnt 0x0
	global_inv scope:SCOPE_SYS
	v_and_b32_e32 v0, 1, v0
	s_branch .LBB5_286
.LBB5_291:                              ;   in Loop: Header=BB5_3 Depth=1
	global_load_b64 v[20:21], v[6:7], off
	s_wait_xcnt 0x0
	s_and_saveexec_b32 s16, s2
	s_cbranch_execz .LBB5_295
; %bb.292:                              ;   in Loop: Header=BB5_3 Depth=1
	s_clause 0x2
	global_load_b64 v[6:7], v1, s[12:13] offset:40
	global_load_b64 v[24:25], v1, s[12:13] offset:24 scope:SCOPE_SYS
	global_load_b64 v[16:17], v1, s[12:13]
	s_wait_loadcnt 0x2
	v_readfirstlane_b32 s18, v6
	v_readfirstlane_b32 s19, v7
	s_add_nc_u64 s[2:3], s[18:19], 1
	s_delay_alu instid0(SALU_CYCLE_1) | instskip(NEXT) | instid1(SALU_CYCLE_1)
	s_add_nc_u64 s[14:15], s[2:3], s[14:15]
	s_cmp_eq_u64 s[14:15], 0
	s_cselect_b32 s3, s3, s15
	s_cselect_b32 s2, s2, s14
	s_delay_alu instid0(SALU_CYCLE_1) | instskip(SKIP_1) | instid1(SALU_CYCLE_1)
	v_dual_mov_b32 v23, s3 :: v_dual_mov_b32 v22, s2
	s_and_b64 s[14:15], s[2:3], s[18:19]
	s_mul_u64 s[14:15], s[14:15], 24
	s_wait_loadcnt 0x0
	v_add_nc_u64_e32 v[6:7], s[14:15], v[16:17]
	global_store_b64 v[6:7], v[24:25], off
	global_wb scope:SCOPE_SYS
	s_wait_storecnt 0x0
	s_wait_xcnt 0x0
	global_atomic_cmpswap_b64 v[18:19], v1, v[22:25], s[12:13] offset:24 th:TH_ATOMIC_RETURN scope:SCOPE_SYS
	s_wait_loadcnt 0x0
	v_cmp_ne_u64_e32 vcc_lo, v[18:19], v[24:25]
	s_wait_xcnt 0x0
	s_and_b32 exec_lo, exec_lo, vcc_lo
	s_cbranch_execz .LBB5_295
; %bb.293:                              ;   in Loop: Header=BB5_3 Depth=1
	s_mov_b32 s14, 0
.LBB5_294:                              ;   Parent Loop BB5_3 Depth=1
                                        ; =>  This Inner Loop Header: Depth=2
	v_dual_mov_b32 v16, s2 :: v_dual_mov_b32 v17, s3
	s_sleep 1
	global_store_b64 v[6:7], v[18:19], off
	global_wb scope:SCOPE_SYS
	s_wait_storecnt 0x0
	s_wait_xcnt 0x0
	global_atomic_cmpswap_b64 v[16:17], v1, v[16:19], s[12:13] offset:24 th:TH_ATOMIC_RETURN scope:SCOPE_SYS
	s_wait_loadcnt 0x0
	v_cmp_eq_u64_e32 vcc_lo, v[16:17], v[18:19]
	s_wait_xcnt 0x0
	v_mov_b64_e32 v[18:19], v[16:17]
	s_or_b32 s14, vcc_lo, s14
	s_delay_alu instid0(SALU_CYCLE_1)
	s_and_not1_b32 exec_lo, exec_lo, s14
	s_cbranch_execnz .LBB5_294
.LBB5_295:                              ;   in Loop: Header=BB5_3 Depth=1
	s_or_b32 exec_lo, exec_lo, s16
	s_delay_alu instid0(SALU_CYCLE_1)
	s_and_b32 vcc_lo, exec_lo, s25
	s_cbranch_vccz .LBB5_453
; %bb.296:                              ;   in Loop: Header=BB5_3 Depth=1
	s_wait_loadcnt 0x0
	v_dual_mov_b32 v17, v21 :: v_dual_bitop2_b32 v6, 2, v20 bitop3:0x40
	v_and_b32_e32 v16, -3, v20
	s_mov_b64 s[16:17], 6
	s_get_pc_i64 s[14:15]
	s_add_nc_u64 s[14:15], s[14:15], .str.7@rel64+4
	s_branch .LBB5_298
.LBB5_297:                              ;   in Loop: Header=BB5_298 Depth=2
	s_or_b32 exec_lo, exec_lo, s22
	s_sub_nc_u64 s[16:17], s[16:17], s[18:19]
	s_add_nc_u64 s[14:15], s[14:15], s[18:19]
	s_cmp_lg_u64 s[16:17], 0
	s_cbranch_scc0 .LBB5_373
.LBB5_298:                              ;   Parent Loop BB5_3 Depth=1
                                        ; =>  This Loop Header: Depth=2
                                        ;       Child Loop BB5_301 Depth 3
                                        ;       Child Loop BB5_308 Depth 3
	;; [unrolled: 1-line block ×11, first 2 shown]
	v_min_u64 v[18:19], s[16:17], 56
	v_cmp_gt_u64_e64 s2, s[16:17], 7
	s_and_b32 vcc_lo, exec_lo, s2
	v_readfirstlane_b32 s18, v18
	v_readfirstlane_b32 s19, v19
	s_cbranch_vccnz .LBB5_303
; %bb.299:                              ;   in Loop: Header=BB5_298 Depth=2
	v_mov_b64_e32 v[18:19], 0
	s_cmp_eq_u64 s[16:17], 0
	s_cbranch_scc1 .LBB5_302
; %bb.300:                              ;   in Loop: Header=BB5_298 Depth=2
	s_mov_b64 s[2:3], 0
	s_mov_b64 s[20:21], 0
.LBB5_301:                              ;   Parent Loop BB5_3 Depth=1
                                        ;     Parent Loop BB5_298 Depth=2
                                        ; =>    This Inner Loop Header: Depth=3
	s_wait_xcnt 0x0
	s_add_nc_u64 s[22:23], s[14:15], s[20:21]
	s_add_nc_u64 s[20:21], s[20:21], 1
	global_load_u8 v0, v1, s[22:23]
	s_cmp_lg_u32 s18, s20
	s_wait_loadcnt 0x0
	v_and_b32_e32 v0, 0xffff, v0
	s_delay_alu instid0(VALU_DEP_1) | instskip(SKIP_1) | instid1(VALU_DEP_1)
	v_lshlrev_b64_e32 v[22:23], s2, v[0:1]
	s_add_nc_u64 s[2:3], s[2:3], 8
	v_or_b32_e32 v18, v22, v18
	s_delay_alu instid0(VALU_DEP_2)
	v_or_b32_e32 v19, v23, v19
	s_cbranch_scc1 .LBB5_301
.LBB5_302:                              ;   in Loop: Header=BB5_298 Depth=2
	s_mov_b64 s[2:3], s[14:15]
	s_mov_b32 s28, 0
	s_cbranch_execz .LBB5_304
	s_branch .LBB5_305
.LBB5_303:                              ;   in Loop: Header=BB5_298 Depth=2
	s_add_nc_u64 s[2:3], s[14:15], 8
	s_mov_b32 s28, 0
.LBB5_304:                              ;   in Loop: Header=BB5_298 Depth=2
	global_load_b64 v[18:19], v1, s[14:15]
	s_add_co_i32 s28, s18, -8
.LBB5_305:                              ;   in Loop: Header=BB5_298 Depth=2
	s_delay_alu instid0(SALU_CYCLE_1)
	s_cmp_gt_u32 s28, 7
	s_cbranch_scc1 .LBB5_310
; %bb.306:                              ;   in Loop: Header=BB5_298 Depth=2
	v_mov_b64_e32 v[22:23], 0
	s_cmp_eq_u32 s28, 0
	s_cbranch_scc1 .LBB5_309
; %bb.307:                              ;   in Loop: Header=BB5_298 Depth=2
	s_mov_b64 s[20:21], 0
	s_wait_xcnt 0x0
	s_mov_b64 s[22:23], 0
.LBB5_308:                              ;   Parent Loop BB5_3 Depth=1
                                        ;     Parent Loop BB5_298 Depth=2
                                        ; =>    This Inner Loop Header: Depth=3
	s_wait_xcnt 0x0
	s_add_nc_u64 s[30:31], s[2:3], s[22:23]
	s_add_nc_u64 s[22:23], s[22:23], 1
	global_load_u8 v0, v1, s[30:31]
	s_cmp_lg_u32 s28, s22
	s_wait_loadcnt 0x0
	v_and_b32_e32 v0, 0xffff, v0
	s_delay_alu instid0(VALU_DEP_1) | instskip(SKIP_1) | instid1(VALU_DEP_1)
	v_lshlrev_b64_e32 v[24:25], s20, v[0:1]
	s_add_nc_u64 s[20:21], s[20:21], 8
	v_or_b32_e32 v22, v24, v22
	s_delay_alu instid0(VALU_DEP_2)
	v_or_b32_e32 v23, v25, v23
	s_cbranch_scc1 .LBB5_308
.LBB5_309:                              ;   in Loop: Header=BB5_298 Depth=2
	s_wait_xcnt 0x0
	s_mov_b64 s[20:21], s[2:3]
	s_mov_b32 s29, 0
	s_cbranch_execz .LBB5_311
	s_branch .LBB5_312
.LBB5_310:                              ;   in Loop: Header=BB5_298 Depth=2
	s_add_nc_u64 s[20:21], s[2:3], 8
	s_wait_xcnt 0x0
                                        ; implicit-def: $vgpr22_vgpr23
	s_mov_b32 s29, 0
.LBB5_311:                              ;   in Loop: Header=BB5_298 Depth=2
	global_load_b64 v[22:23], v1, s[2:3]
	s_add_co_i32 s29, s28, -8
.LBB5_312:                              ;   in Loop: Header=BB5_298 Depth=2
	s_delay_alu instid0(SALU_CYCLE_1)
	s_cmp_gt_u32 s29, 7
	s_cbranch_scc1 .LBB5_317
; %bb.313:                              ;   in Loop: Header=BB5_298 Depth=2
	v_mov_b64_e32 v[24:25], 0
	s_cmp_eq_u32 s29, 0
	s_cbranch_scc1 .LBB5_316
; %bb.314:                              ;   in Loop: Header=BB5_298 Depth=2
	s_wait_xcnt 0x0
	s_mov_b64 s[2:3], 0
	s_mov_b64 s[22:23], 0
.LBB5_315:                              ;   Parent Loop BB5_3 Depth=1
                                        ;     Parent Loop BB5_298 Depth=2
                                        ; =>    This Inner Loop Header: Depth=3
	s_wait_xcnt 0x0
	s_add_nc_u64 s[30:31], s[20:21], s[22:23]
	s_add_nc_u64 s[22:23], s[22:23], 1
	global_load_u8 v0, v1, s[30:31]
	s_cmp_lg_u32 s29, s22
	s_wait_loadcnt 0x0
	v_and_b32_e32 v0, 0xffff, v0
	s_delay_alu instid0(VALU_DEP_1) | instskip(SKIP_1) | instid1(VALU_DEP_1)
	v_lshlrev_b64_e32 v[26:27], s2, v[0:1]
	s_add_nc_u64 s[2:3], s[2:3], 8
	v_or_b32_e32 v24, v26, v24
	s_delay_alu instid0(VALU_DEP_2)
	v_or_b32_e32 v25, v27, v25
	s_cbranch_scc1 .LBB5_315
.LBB5_316:                              ;   in Loop: Header=BB5_298 Depth=2
	s_wait_xcnt 0x0
	s_mov_b64 s[2:3], s[20:21]
	s_mov_b32 s28, 0
	s_cbranch_execz .LBB5_318
	s_branch .LBB5_319
.LBB5_317:                              ;   in Loop: Header=BB5_298 Depth=2
	s_wait_xcnt 0x0
	s_add_nc_u64 s[2:3], s[20:21], 8
	s_mov_b32 s28, 0
.LBB5_318:                              ;   in Loop: Header=BB5_298 Depth=2
	global_load_b64 v[24:25], v1, s[20:21]
	s_add_co_i32 s28, s29, -8
.LBB5_319:                              ;   in Loop: Header=BB5_298 Depth=2
	s_delay_alu instid0(SALU_CYCLE_1)
	s_cmp_gt_u32 s28, 7
	s_cbranch_scc1 .LBB5_324
; %bb.320:                              ;   in Loop: Header=BB5_298 Depth=2
	v_mov_b64_e32 v[26:27], 0
	s_cmp_eq_u32 s28, 0
	s_cbranch_scc1 .LBB5_323
; %bb.321:                              ;   in Loop: Header=BB5_298 Depth=2
	s_wait_xcnt 0x0
	s_mov_b64 s[20:21], 0
	s_mov_b64 s[22:23], 0
.LBB5_322:                              ;   Parent Loop BB5_3 Depth=1
                                        ;     Parent Loop BB5_298 Depth=2
                                        ; =>    This Inner Loop Header: Depth=3
	s_wait_xcnt 0x0
	s_add_nc_u64 s[30:31], s[2:3], s[22:23]
	s_add_nc_u64 s[22:23], s[22:23], 1
	global_load_u8 v0, v1, s[30:31]
	s_cmp_lg_u32 s28, s22
	s_wait_loadcnt 0x0
	v_and_b32_e32 v0, 0xffff, v0
	s_delay_alu instid0(VALU_DEP_1) | instskip(SKIP_1) | instid1(VALU_DEP_1)
	v_lshlrev_b64_e32 v[28:29], s20, v[0:1]
	s_add_nc_u64 s[20:21], s[20:21], 8
	v_or_b32_e32 v26, v28, v26
	s_delay_alu instid0(VALU_DEP_2)
	v_or_b32_e32 v27, v29, v27
	s_cbranch_scc1 .LBB5_322
.LBB5_323:                              ;   in Loop: Header=BB5_298 Depth=2
	s_wait_xcnt 0x0
	s_mov_b64 s[20:21], s[2:3]
	s_mov_b32 s29, 0
	s_cbranch_execz .LBB5_325
	s_branch .LBB5_326
.LBB5_324:                              ;   in Loop: Header=BB5_298 Depth=2
	s_wait_xcnt 0x0
	s_add_nc_u64 s[20:21], s[2:3], 8
                                        ; implicit-def: $vgpr26_vgpr27
	s_mov_b32 s29, 0
.LBB5_325:                              ;   in Loop: Header=BB5_298 Depth=2
	global_load_b64 v[26:27], v1, s[2:3]
	s_add_co_i32 s29, s28, -8
.LBB5_326:                              ;   in Loop: Header=BB5_298 Depth=2
	s_delay_alu instid0(SALU_CYCLE_1)
	s_cmp_gt_u32 s29, 7
	s_cbranch_scc1 .LBB5_331
; %bb.327:                              ;   in Loop: Header=BB5_298 Depth=2
	v_mov_b64_e32 v[28:29], 0
	s_cmp_eq_u32 s29, 0
	s_cbranch_scc1 .LBB5_330
; %bb.328:                              ;   in Loop: Header=BB5_298 Depth=2
	s_wait_xcnt 0x0
	s_mov_b64 s[2:3], 0
	s_mov_b64 s[22:23], 0
.LBB5_329:                              ;   Parent Loop BB5_3 Depth=1
                                        ;     Parent Loop BB5_298 Depth=2
                                        ; =>    This Inner Loop Header: Depth=3
	s_wait_xcnt 0x0
	s_add_nc_u64 s[30:31], s[20:21], s[22:23]
	s_add_nc_u64 s[22:23], s[22:23], 1
	global_load_u8 v0, v1, s[30:31]
	s_cmp_lg_u32 s29, s22
	s_wait_loadcnt 0x0
	v_and_b32_e32 v0, 0xffff, v0
	s_delay_alu instid0(VALU_DEP_1) | instskip(SKIP_1) | instid1(VALU_DEP_1)
	v_lshlrev_b64_e32 v[30:31], s2, v[0:1]
	s_add_nc_u64 s[2:3], s[2:3], 8
	v_or_b32_e32 v28, v30, v28
	s_delay_alu instid0(VALU_DEP_2)
	v_or_b32_e32 v29, v31, v29
	s_cbranch_scc1 .LBB5_329
.LBB5_330:                              ;   in Loop: Header=BB5_298 Depth=2
	s_wait_xcnt 0x0
	s_mov_b64 s[2:3], s[20:21]
	s_mov_b32 s28, 0
	s_cbranch_execz .LBB5_332
	s_branch .LBB5_333
.LBB5_331:                              ;   in Loop: Header=BB5_298 Depth=2
	s_wait_xcnt 0x0
	s_add_nc_u64 s[2:3], s[20:21], 8
	s_mov_b32 s28, 0
.LBB5_332:                              ;   in Loop: Header=BB5_298 Depth=2
	global_load_b64 v[28:29], v1, s[20:21]
	s_add_co_i32 s28, s29, -8
.LBB5_333:                              ;   in Loop: Header=BB5_298 Depth=2
	s_delay_alu instid0(SALU_CYCLE_1)
	s_cmp_gt_u32 s28, 7
	s_cbranch_scc1 .LBB5_338
; %bb.334:                              ;   in Loop: Header=BB5_298 Depth=2
	v_mov_b64_e32 v[30:31], 0
	s_cmp_eq_u32 s28, 0
	s_cbranch_scc1 .LBB5_337
; %bb.335:                              ;   in Loop: Header=BB5_298 Depth=2
	s_wait_xcnt 0x0
	s_mov_b64 s[20:21], 0
	s_mov_b64 s[22:23], 0
.LBB5_336:                              ;   Parent Loop BB5_3 Depth=1
                                        ;     Parent Loop BB5_298 Depth=2
                                        ; =>    This Inner Loop Header: Depth=3
	s_wait_xcnt 0x0
	s_add_nc_u64 s[30:31], s[2:3], s[22:23]
	s_add_nc_u64 s[22:23], s[22:23], 1
	global_load_u8 v0, v1, s[30:31]
	s_cmp_lg_u32 s28, s22
	s_wait_loadcnt 0x0
	v_and_b32_e32 v0, 0xffff, v0
	s_delay_alu instid0(VALU_DEP_1) | instskip(SKIP_1) | instid1(VALU_DEP_1)
	v_lshlrev_b64_e32 v[32:33], s20, v[0:1]
	s_add_nc_u64 s[20:21], s[20:21], 8
	v_or_b32_e32 v30, v32, v30
	s_delay_alu instid0(VALU_DEP_2)
	v_or_b32_e32 v31, v33, v31
	s_cbranch_scc1 .LBB5_336
.LBB5_337:                              ;   in Loop: Header=BB5_298 Depth=2
	s_wait_xcnt 0x0
	s_mov_b64 s[20:21], s[2:3]
	s_mov_b32 s29, 0
	s_cbranch_execz .LBB5_339
	s_branch .LBB5_340
.LBB5_338:                              ;   in Loop: Header=BB5_298 Depth=2
	s_wait_xcnt 0x0
	s_add_nc_u64 s[20:21], s[2:3], 8
                                        ; implicit-def: $vgpr30_vgpr31
	s_mov_b32 s29, 0
.LBB5_339:                              ;   in Loop: Header=BB5_298 Depth=2
	global_load_b64 v[30:31], v1, s[2:3]
	s_add_co_i32 s29, s28, -8
.LBB5_340:                              ;   in Loop: Header=BB5_298 Depth=2
	s_delay_alu instid0(SALU_CYCLE_1)
	s_cmp_gt_u32 s29, 7
	s_cbranch_scc1 .LBB5_345
; %bb.341:                              ;   in Loop: Header=BB5_298 Depth=2
	v_mov_b64_e32 v[32:33], 0
	s_cmp_eq_u32 s29, 0
	s_cbranch_scc1 .LBB5_344
; %bb.342:                              ;   in Loop: Header=BB5_298 Depth=2
	s_wait_xcnt 0x0
	s_mov_b64 s[2:3], 0
	s_mov_b64 s[22:23], s[20:21]
.LBB5_343:                              ;   Parent Loop BB5_3 Depth=1
                                        ;     Parent Loop BB5_298 Depth=2
                                        ; =>    This Inner Loop Header: Depth=3
	global_load_u8 v0, v1, s[22:23]
	s_add_co_i32 s29, s29, -1
	s_wait_xcnt 0x0
	s_add_nc_u64 s[22:23], s[22:23], 1
	s_cmp_lg_u32 s29, 0
	s_wait_loadcnt 0x0
	v_and_b32_e32 v0, 0xffff, v0
	s_delay_alu instid0(VALU_DEP_1) | instskip(SKIP_1) | instid1(VALU_DEP_1)
	v_lshlrev_b64_e32 v[34:35], s2, v[0:1]
	s_add_nc_u64 s[2:3], s[2:3], 8
	v_or_b32_e32 v32, v34, v32
	s_delay_alu instid0(VALU_DEP_2)
	v_or_b32_e32 v33, v35, v33
	s_cbranch_scc1 .LBB5_343
.LBB5_344:                              ;   in Loop: Header=BB5_298 Depth=2
	s_wait_xcnt 0x0
	s_cbranch_execz .LBB5_346
	s_branch .LBB5_347
.LBB5_345:                              ;   in Loop: Header=BB5_298 Depth=2
	s_wait_xcnt 0x0
.LBB5_346:                              ;   in Loop: Header=BB5_298 Depth=2
	global_load_b64 v[32:33], v1, s[20:21]
.LBB5_347:                              ;   in Loop: Header=BB5_298 Depth=2
	v_readfirstlane_b32 s2, v38
	v_mov_b64_e32 v[52:53], 0
	s_delay_alu instid0(VALU_DEP_2)
	v_cmp_eq_u32_e64 s2, s2, v38
	s_wait_xcnt 0x0
	s_and_saveexec_b32 s3, s2
	s_cbranch_execz .LBB5_353
; %bb.348:                              ;   in Loop: Header=BB5_298 Depth=2
	global_load_b64 v[36:37], v1, s[12:13] offset:24 scope:SCOPE_SYS
	s_wait_loadcnt 0x0
	global_inv scope:SCOPE_SYS
	s_clause 0x1
	global_load_b64 v[34:35], v1, s[12:13] offset:40
	global_load_b64 v[52:53], v1, s[12:13]
	s_mov_b32 s20, exec_lo
	s_wait_loadcnt 0x1
	v_and_b32_e32 v34, v34, v36
	v_and_b32_e32 v35, v35, v37
	s_delay_alu instid0(VALU_DEP_1) | instskip(SKIP_1) | instid1(VALU_DEP_1)
	v_mul_u64_e32 v[34:35], 24, v[34:35]
	s_wait_loadcnt 0x0
	v_add_nc_u64_e32 v[34:35], v[52:53], v[34:35]
	global_load_b64 v[34:35], v[34:35], off scope:SCOPE_SYS
	s_wait_xcnt 0x0
	s_wait_loadcnt 0x0
	global_atomic_cmpswap_b64 v[52:53], v1, v[34:37], s[12:13] offset:24 th:TH_ATOMIC_RETURN scope:SCOPE_SYS
	s_wait_loadcnt 0x0
	global_inv scope:SCOPE_SYS
	s_wait_xcnt 0x0
	v_cmpx_ne_u64_e64 v[52:53], v[36:37]
	s_cbranch_execz .LBB5_352
; %bb.349:                              ;   in Loop: Header=BB5_298 Depth=2
	s_mov_b32 s21, 0
.LBB5_350:                              ;   Parent Loop BB5_3 Depth=1
                                        ;     Parent Loop BB5_298 Depth=2
                                        ; =>    This Inner Loop Header: Depth=3
	s_sleep 1
	s_clause 0x1
	global_load_b64 v[34:35], v1, s[12:13] offset:40
	global_load_b64 v[54:55], v1, s[12:13]
	v_mov_b64_e32 v[36:37], v[52:53]
	s_wait_loadcnt 0x1
	s_delay_alu instid0(VALU_DEP_1) | instskip(SKIP_1) | instid1(VALU_DEP_1)
	v_and_b32_e32 v0, v34, v36
	s_wait_loadcnt 0x0
	v_mad_nc_u64_u32 v[52:53], v0, 24, v[54:55]
	s_delay_alu instid0(VALU_DEP_3) | instskip(NEXT) | instid1(VALU_DEP_1)
	v_and_b32_e32 v0, v35, v37
	v_mad_u32 v53, v0, 24, v53
	global_load_b64 v[34:35], v[52:53], off scope:SCOPE_SYS
	s_wait_xcnt 0x0
	s_wait_loadcnt 0x0
	global_atomic_cmpswap_b64 v[52:53], v1, v[34:37], s[12:13] offset:24 th:TH_ATOMIC_RETURN scope:SCOPE_SYS
	s_wait_loadcnt 0x0
	global_inv scope:SCOPE_SYS
	v_cmp_eq_u64_e32 vcc_lo, v[52:53], v[36:37]
	s_or_b32 s21, vcc_lo, s21
	s_wait_xcnt 0x0
	s_and_not1_b32 exec_lo, exec_lo, s21
	s_cbranch_execnz .LBB5_350
; %bb.351:                              ;   in Loop: Header=BB5_298 Depth=2
	s_or_b32 exec_lo, exec_lo, s21
.LBB5_352:                              ;   in Loop: Header=BB5_298 Depth=2
	s_delay_alu instid0(SALU_CYCLE_1)
	s_or_b32 exec_lo, exec_lo, s20
.LBB5_353:                              ;   in Loop: Header=BB5_298 Depth=2
	s_delay_alu instid0(SALU_CYCLE_1)
	s_or_b32 exec_lo, exec_lo, s3
	s_clause 0x1
	global_load_b64 v[54:55], v1, s[12:13] offset:40
	global_load_b128 v[34:37], v1, s[12:13]
	v_readfirstlane_b32 s20, v52
	v_readfirstlane_b32 s21, v53
	s_mov_b32 s3, exec_lo
	s_wait_loadcnt 0x1
	v_and_b32_e32 v54, s20, v54
	v_and_b32_e32 v55, s21, v55
	s_delay_alu instid0(VALU_DEP_1) | instskip(SKIP_1) | instid1(VALU_DEP_1)
	v_mul_u64_e32 v[52:53], 24, v[54:55]
	s_wait_loadcnt 0x0
	v_add_nc_u64_e32 v[52:53], v[34:35], v[52:53]
	s_wait_xcnt 0x0
	s_and_saveexec_b32 s22, s2
	s_cbranch_execz .LBB5_355
; %bb.354:                              ;   in Loop: Header=BB5_298 Depth=2
	v_mov_b32_e32 v0, s3
	global_store_b128 v[52:53], v[0:3], off offset:8
.LBB5_355:                              ;   in Loop: Header=BB5_298 Depth=2
	s_wait_xcnt 0x0
	s_or_b32 exec_lo, exec_lo, s22
	v_cmp_lt_u64_e64 vcc_lo, s[16:17], 57
	v_lshlrev_b64_e32 v[54:55], 12, v[54:55]
	v_and_b32_e32 v5, 0xffffff1f, v16
	s_lshl_b32 s3, s18, 2
	s_delay_alu instid0(SALU_CYCLE_1) | instskip(SKIP_1) | instid1(VALU_DEP_3)
	s_add_co_i32 s3, s3, 28
	v_cndmask_b32_e32 v0, 0, v6, vcc_lo
	v_add_nc_u64_e32 v[36:37], v[36:37], v[54:55]
	s_delay_alu instid0(VALU_DEP_2) | instskip(NEXT) | instid1(VALU_DEP_2)
	v_or_b32_e32 v0, v5, v0
	v_readfirstlane_b32 s22, v36
	s_delay_alu instid0(VALU_DEP_3) | instskip(NEXT) | instid1(VALU_DEP_3)
	v_readfirstlane_b32 s23, v37
	v_and_or_b32 v16, 0x1e0, s3, v0
	s_clause 0x3
	global_store_b128 v46, v[16:19], s[22:23]
	global_store_b128 v46, v[22:25], s[22:23] offset:16
	global_store_b128 v46, v[26:29], s[22:23] offset:32
	;; [unrolled: 1-line block ×3, first 2 shown]
	s_wait_xcnt 0x0
	s_and_saveexec_b32 s3, s2
	s_cbranch_execz .LBB5_363
; %bb.356:                              ;   in Loop: Header=BB5_298 Depth=2
	s_clause 0x1
	global_load_b64 v[26:27], v1, s[12:13] offset:32 scope:SCOPE_SYS
	global_load_b64 v[16:17], v1, s[12:13] offset:40
	s_mov_b32 s22, exec_lo
	v_dual_mov_b32 v24, s20 :: v_dual_mov_b32 v25, s21
	s_wait_loadcnt 0x0
	v_and_b32_e32 v17, s21, v17
	v_and_b32_e32 v16, s20, v16
	s_delay_alu instid0(VALU_DEP_1) | instskip(NEXT) | instid1(VALU_DEP_1)
	v_mul_u64_e32 v[16:17], 24, v[16:17]
	v_add_nc_u64_e32 v[22:23], v[34:35], v[16:17]
	global_store_b64 v[22:23], v[26:27], off
	global_wb scope:SCOPE_SYS
	s_wait_storecnt 0x0
	s_wait_xcnt 0x0
	global_atomic_cmpswap_b64 v[18:19], v1, v[24:27], s[12:13] offset:32 th:TH_ATOMIC_RETURN scope:SCOPE_SYS
	s_wait_loadcnt 0x0
	v_cmpx_ne_u64_e64 v[18:19], v[26:27]
	s_cbranch_execz .LBB5_359
; %bb.357:                              ;   in Loop: Header=BB5_298 Depth=2
	s_mov_b32 s23, 0
.LBB5_358:                              ;   Parent Loop BB5_3 Depth=1
                                        ;     Parent Loop BB5_298 Depth=2
                                        ; =>    This Inner Loop Header: Depth=3
	v_dual_mov_b32 v16, s20 :: v_dual_mov_b32 v17, s21
	s_sleep 1
	global_store_b64 v[22:23], v[18:19], off
	global_wb scope:SCOPE_SYS
	s_wait_storecnt 0x0
	s_wait_xcnt 0x0
	global_atomic_cmpswap_b64 v[16:17], v1, v[16:19], s[12:13] offset:32 th:TH_ATOMIC_RETURN scope:SCOPE_SYS
	s_wait_loadcnt 0x0
	v_cmp_eq_u64_e32 vcc_lo, v[16:17], v[18:19]
	v_mov_b64_e32 v[18:19], v[16:17]
	s_or_b32 s23, vcc_lo, s23
	s_delay_alu instid0(SALU_CYCLE_1)
	s_and_not1_b32 exec_lo, exec_lo, s23
	s_cbranch_execnz .LBB5_358
.LBB5_359:                              ;   in Loop: Header=BB5_298 Depth=2
	s_or_b32 exec_lo, exec_lo, s22
	global_load_b64 v[16:17], v1, s[12:13] offset:16
	s_mov_b32 s23, exec_lo
	s_mov_b32 s22, exec_lo
	v_mbcnt_lo_u32_b32 v0, s23, 0
	s_wait_xcnt 0x0
	s_delay_alu instid0(VALU_DEP_1)
	v_cmpx_eq_u32_e32 0, v0
	s_cbranch_execz .LBB5_361
; %bb.360:                              ;   in Loop: Header=BB5_298 Depth=2
	s_bcnt1_i32_b32 s23, s23
	s_delay_alu instid0(SALU_CYCLE_1)
	v_mov_b32_e32 v0, s23
	global_wb scope:SCOPE_SYS
	s_wait_loadcnt 0x0
	s_wait_storecnt 0x0
	global_atomic_add_u64 v[16:17], v[0:1], off offset:8 scope:SCOPE_SYS
.LBB5_361:                              ;   in Loop: Header=BB5_298 Depth=2
	s_wait_xcnt 0x0
	s_or_b32 exec_lo, exec_lo, s22
	s_wait_loadcnt 0x0
	global_load_b64 v[18:19], v[16:17], off offset:16
	s_wait_loadcnt 0x0
	v_cmp_eq_u64_e32 vcc_lo, 0, v[18:19]
	s_cbranch_vccnz .LBB5_363
; %bb.362:                              ;   in Loop: Header=BB5_298 Depth=2
	global_load_b32 v0, v[16:17], off offset:24
	s_wait_loadcnt 0x0
	v_readfirstlane_b32 s22, v0
	global_wb scope:SCOPE_SYS
	s_wait_storecnt 0x0
	s_wait_xcnt 0x0
	global_store_b64 v[18:19], v[0:1], off scope:SCOPE_SYS
	s_and_b32 m0, s22, 0xffffff
	s_sendmsg sendmsg(MSG_INTERRUPT)
.LBB5_363:                              ;   in Loop: Header=BB5_298 Depth=2
	s_wait_xcnt 0x0
	s_or_b32 exec_lo, exec_lo, s3
	v_mov_b32_e32 v47, v1
	s_delay_alu instid0(VALU_DEP_1)
	v_add_nc_u64_e32 v[16:17], v[36:37], v[46:47]
	s_branch .LBB5_367
.LBB5_364:                              ;   in Loop: Header=BB5_367 Depth=3
	s_wait_xcnt 0x0
	s_or_b32 exec_lo, exec_lo, s3
	s_delay_alu instid0(VALU_DEP_1)
	v_readfirstlane_b32 s3, v0
	s_cmp_eq_u32 s3, 0
	s_cbranch_scc1 .LBB5_366
; %bb.365:                              ;   in Loop: Header=BB5_367 Depth=3
	s_sleep 1
	s_cbranch_execnz .LBB5_367
	s_branch .LBB5_369
.LBB5_366:                              ;   in Loop: Header=BB5_298 Depth=2
	s_branch .LBB5_369
.LBB5_367:                              ;   Parent Loop BB5_3 Depth=1
                                        ;     Parent Loop BB5_298 Depth=2
                                        ; =>    This Inner Loop Header: Depth=3
	v_mov_b32_e32 v0, 1
	s_and_saveexec_b32 s3, s2
	s_cbranch_execz .LBB5_364
; %bb.368:                              ;   in Loop: Header=BB5_367 Depth=3
	global_load_b32 v0, v[52:53], off offset:20 scope:SCOPE_SYS
	s_wait_loadcnt 0x0
	global_inv scope:SCOPE_SYS
	v_and_b32_e32 v0, 1, v0
	s_branch .LBB5_364
.LBB5_369:                              ;   in Loop: Header=BB5_298 Depth=2
	global_load_b64 v[16:17], v[16:17], off
	s_wait_xcnt 0x0
	s_and_saveexec_b32 s22, s2
	s_cbranch_execz .LBB5_297
; %bb.370:                              ;   in Loop: Header=BB5_298 Depth=2
	s_clause 0x2
	global_load_b64 v[18:19], v1, s[12:13] offset:40
	global_load_b64 v[26:27], v1, s[12:13] offset:24 scope:SCOPE_SYS
	global_load_b64 v[22:23], v1, s[12:13]
	s_wait_loadcnt 0x2
	v_readfirstlane_b32 s28, v18
	v_readfirstlane_b32 s29, v19
	s_add_nc_u64 s[2:3], s[28:29], 1
	s_delay_alu instid0(SALU_CYCLE_1) | instskip(NEXT) | instid1(SALU_CYCLE_1)
	s_add_nc_u64 s[20:21], s[2:3], s[20:21]
	s_cmp_eq_u64 s[20:21], 0
	s_cselect_b32 s3, s3, s21
	s_cselect_b32 s2, s2, s20
	s_delay_alu instid0(SALU_CYCLE_1) | instskip(SKIP_1) | instid1(SALU_CYCLE_1)
	v_dual_mov_b32 v25, s3 :: v_dual_mov_b32 v24, s2
	s_and_b64 s[20:21], s[2:3], s[28:29]
	s_mul_u64 s[20:21], s[20:21], 24
	s_wait_loadcnt 0x0
	v_add_nc_u64_e32 v[18:19], s[20:21], v[22:23]
	global_store_b64 v[18:19], v[26:27], off
	global_wb scope:SCOPE_SYS
	s_wait_storecnt 0x0
	s_wait_xcnt 0x0
	global_atomic_cmpswap_b64 v[24:25], v1, v[24:27], s[12:13] offset:24 th:TH_ATOMIC_RETURN scope:SCOPE_SYS
	s_wait_loadcnt 0x0
	v_cmp_ne_u64_e32 vcc_lo, v[24:25], v[26:27]
	s_and_b32 exec_lo, exec_lo, vcc_lo
	s_cbranch_execz .LBB5_297
; %bb.371:                              ;   in Loop: Header=BB5_298 Depth=2
	s_mov_b32 s20, 0
.LBB5_372:                              ;   Parent Loop BB5_3 Depth=1
                                        ;     Parent Loop BB5_298 Depth=2
                                        ; =>    This Inner Loop Header: Depth=3
	v_dual_mov_b32 v22, s2 :: v_dual_mov_b32 v23, s3
	s_sleep 1
	global_store_b64 v[18:19], v[24:25], off
	global_wb scope:SCOPE_SYS
	s_wait_storecnt 0x0
	s_wait_xcnt 0x0
	global_atomic_cmpswap_b64 v[22:23], v1, v[22:25], s[12:13] offset:24 th:TH_ATOMIC_RETURN scope:SCOPE_SYS
	s_wait_loadcnt 0x0
	v_cmp_eq_u64_e32 vcc_lo, v[22:23], v[24:25]
	v_mov_b64_e32 v[24:25], v[22:23]
	s_or_b32 s20, vcc_lo, s20
	s_delay_alu instid0(SALU_CYCLE_1)
	s_and_not1_b32 exec_lo, exec_lo, s20
	s_cbranch_execnz .LBB5_372
	s_branch .LBB5_297
.LBB5_373:                              ;   in Loop: Header=BB5_3 Depth=1
.LBB5_374:                              ;   in Loop: Header=BB5_3 Depth=1
	s_and_b32 vcc_lo, exec_lo, s26
	s_cbranch_vccz .LBB5_481
.LBB5_375:                              ;   in Loop: Header=BB5_3 Depth=1
	s_wait_loadcnt 0x0
	v_dual_mov_b32 v19, v17 :: v_dual_bitop2_b32 v6, 2, v16 bitop3:0x40
	v_and_b32_e32 v18, -3, v16
	s_mov_b64 s[16:17], 45
	s_get_pc_i64 s[14:15]
	s_add_nc_u64 s[14:15], s[14:15], .str.6@rel64+4
	s_branch .LBB5_377
.LBB5_376:                              ;   in Loop: Header=BB5_377 Depth=2
	s_or_b32 exec_lo, exec_lo, s22
	s_sub_nc_u64 s[16:17], s[16:17], s[18:19]
	s_add_nc_u64 s[14:15], s[14:15], s[18:19]
	s_cmp_lg_u64 s[16:17], 0
	s_cbranch_scc0 .LBB5_452
.LBB5_377:                              ;   Parent Loop BB5_3 Depth=1
                                        ; =>  This Loop Header: Depth=2
                                        ;       Child Loop BB5_380 Depth 3
                                        ;       Child Loop BB5_387 Depth 3
	;; [unrolled: 1-line block ×11, first 2 shown]
	v_min_u64 v[20:21], s[16:17], 56
	v_cmp_gt_u64_e64 s2, s[16:17], 7
	s_and_b32 vcc_lo, exec_lo, s2
	v_readfirstlane_b32 s18, v20
	v_readfirstlane_b32 s19, v21
	s_cbranch_vccnz .LBB5_382
; %bb.378:                              ;   in Loop: Header=BB5_377 Depth=2
	v_mov_b64_e32 v[20:21], 0
	s_cmp_eq_u64 s[16:17], 0
	s_cbranch_scc1 .LBB5_381
; %bb.379:                              ;   in Loop: Header=BB5_377 Depth=2
	s_mov_b64 s[2:3], 0
	s_mov_b64 s[20:21], 0
.LBB5_380:                              ;   Parent Loop BB5_3 Depth=1
                                        ;     Parent Loop BB5_377 Depth=2
                                        ; =>    This Inner Loop Header: Depth=3
	s_wait_xcnt 0x0
	s_add_nc_u64 s[22:23], s[14:15], s[20:21]
	s_add_nc_u64 s[20:21], s[20:21], 1
	global_load_u8 v0, v1, s[22:23]
	s_cmp_lg_u32 s18, s20
	s_wait_loadcnt 0x0
	v_and_b32_e32 v0, 0xffff, v0
	s_delay_alu instid0(VALU_DEP_1) | instskip(SKIP_1) | instid1(VALU_DEP_1)
	v_lshlrev_b64_e32 v[22:23], s2, v[0:1]
	s_add_nc_u64 s[2:3], s[2:3], 8
	v_or_b32_e32 v20, v22, v20
	s_delay_alu instid0(VALU_DEP_2)
	v_or_b32_e32 v21, v23, v21
	s_cbranch_scc1 .LBB5_380
.LBB5_381:                              ;   in Loop: Header=BB5_377 Depth=2
	s_mov_b64 s[2:3], s[14:15]
	s_mov_b32 s28, 0
	s_cbranch_execz .LBB5_383
	s_branch .LBB5_384
.LBB5_382:                              ;   in Loop: Header=BB5_377 Depth=2
	s_add_nc_u64 s[2:3], s[14:15], 8
	s_mov_b32 s28, 0
.LBB5_383:                              ;   in Loop: Header=BB5_377 Depth=2
	global_load_b64 v[20:21], v1, s[14:15]
	s_add_co_i32 s28, s18, -8
.LBB5_384:                              ;   in Loop: Header=BB5_377 Depth=2
	s_delay_alu instid0(SALU_CYCLE_1)
	s_cmp_gt_u32 s28, 7
	s_cbranch_scc1 .LBB5_389
; %bb.385:                              ;   in Loop: Header=BB5_377 Depth=2
	v_mov_b64_e32 v[22:23], 0
	s_cmp_eq_u32 s28, 0
	s_cbranch_scc1 .LBB5_388
; %bb.386:                              ;   in Loop: Header=BB5_377 Depth=2
	s_mov_b64 s[20:21], 0
	s_wait_xcnt 0x0
	s_mov_b64 s[22:23], 0
.LBB5_387:                              ;   Parent Loop BB5_3 Depth=1
                                        ;     Parent Loop BB5_377 Depth=2
                                        ; =>    This Inner Loop Header: Depth=3
	s_wait_xcnt 0x0
	s_add_nc_u64 s[30:31], s[2:3], s[22:23]
	s_add_nc_u64 s[22:23], s[22:23], 1
	global_load_u8 v0, v1, s[30:31]
	s_cmp_lg_u32 s28, s22
	s_wait_loadcnt 0x0
	v_and_b32_e32 v0, 0xffff, v0
	s_delay_alu instid0(VALU_DEP_1) | instskip(SKIP_1) | instid1(VALU_DEP_1)
	v_lshlrev_b64_e32 v[24:25], s20, v[0:1]
	s_add_nc_u64 s[20:21], s[20:21], 8
	v_or_b32_e32 v22, v24, v22
	s_delay_alu instid0(VALU_DEP_2)
	v_or_b32_e32 v23, v25, v23
	s_cbranch_scc1 .LBB5_387
.LBB5_388:                              ;   in Loop: Header=BB5_377 Depth=2
	s_wait_xcnt 0x0
	s_mov_b64 s[20:21], s[2:3]
	s_mov_b32 s29, 0
	s_cbranch_execz .LBB5_390
	s_branch .LBB5_391
.LBB5_389:                              ;   in Loop: Header=BB5_377 Depth=2
	s_add_nc_u64 s[20:21], s[2:3], 8
	s_wait_xcnt 0x0
                                        ; implicit-def: $vgpr22_vgpr23
	s_mov_b32 s29, 0
.LBB5_390:                              ;   in Loop: Header=BB5_377 Depth=2
	global_load_b64 v[22:23], v1, s[2:3]
	s_add_co_i32 s29, s28, -8
.LBB5_391:                              ;   in Loop: Header=BB5_377 Depth=2
	s_delay_alu instid0(SALU_CYCLE_1)
	s_cmp_gt_u32 s29, 7
	s_cbranch_scc1 .LBB5_396
; %bb.392:                              ;   in Loop: Header=BB5_377 Depth=2
	v_mov_b64_e32 v[24:25], 0
	s_cmp_eq_u32 s29, 0
	s_cbranch_scc1 .LBB5_395
; %bb.393:                              ;   in Loop: Header=BB5_377 Depth=2
	s_wait_xcnt 0x0
	s_mov_b64 s[2:3], 0
	s_mov_b64 s[22:23], 0
.LBB5_394:                              ;   Parent Loop BB5_3 Depth=1
                                        ;     Parent Loop BB5_377 Depth=2
                                        ; =>    This Inner Loop Header: Depth=3
	s_wait_xcnt 0x0
	s_add_nc_u64 s[30:31], s[20:21], s[22:23]
	s_add_nc_u64 s[22:23], s[22:23], 1
	global_load_u8 v0, v1, s[30:31]
	s_cmp_lg_u32 s29, s22
	s_wait_loadcnt 0x0
	v_and_b32_e32 v0, 0xffff, v0
	s_delay_alu instid0(VALU_DEP_1) | instskip(SKIP_1) | instid1(VALU_DEP_1)
	v_lshlrev_b64_e32 v[26:27], s2, v[0:1]
	s_add_nc_u64 s[2:3], s[2:3], 8
	v_or_b32_e32 v24, v26, v24
	s_delay_alu instid0(VALU_DEP_2)
	v_or_b32_e32 v25, v27, v25
	s_cbranch_scc1 .LBB5_394
.LBB5_395:                              ;   in Loop: Header=BB5_377 Depth=2
	s_wait_xcnt 0x0
	s_mov_b64 s[2:3], s[20:21]
	s_mov_b32 s28, 0
	s_cbranch_execz .LBB5_397
	s_branch .LBB5_398
.LBB5_396:                              ;   in Loop: Header=BB5_377 Depth=2
	s_wait_xcnt 0x0
	s_add_nc_u64 s[2:3], s[20:21], 8
	s_mov_b32 s28, 0
.LBB5_397:                              ;   in Loop: Header=BB5_377 Depth=2
	global_load_b64 v[24:25], v1, s[20:21]
	s_add_co_i32 s28, s29, -8
.LBB5_398:                              ;   in Loop: Header=BB5_377 Depth=2
	s_delay_alu instid0(SALU_CYCLE_1)
	s_cmp_gt_u32 s28, 7
	s_cbranch_scc1 .LBB5_403
; %bb.399:                              ;   in Loop: Header=BB5_377 Depth=2
	v_mov_b64_e32 v[26:27], 0
	s_cmp_eq_u32 s28, 0
	s_cbranch_scc1 .LBB5_402
; %bb.400:                              ;   in Loop: Header=BB5_377 Depth=2
	s_wait_xcnt 0x0
	s_mov_b64 s[20:21], 0
	s_mov_b64 s[22:23], 0
.LBB5_401:                              ;   Parent Loop BB5_3 Depth=1
                                        ;     Parent Loop BB5_377 Depth=2
                                        ; =>    This Inner Loop Header: Depth=3
	s_wait_xcnt 0x0
	s_add_nc_u64 s[30:31], s[2:3], s[22:23]
	s_add_nc_u64 s[22:23], s[22:23], 1
	global_load_u8 v0, v1, s[30:31]
	s_cmp_lg_u32 s28, s22
	s_wait_loadcnt 0x0
	v_and_b32_e32 v0, 0xffff, v0
	s_delay_alu instid0(VALU_DEP_1) | instskip(SKIP_1) | instid1(VALU_DEP_1)
	v_lshlrev_b64_e32 v[28:29], s20, v[0:1]
	s_add_nc_u64 s[20:21], s[20:21], 8
	v_or_b32_e32 v26, v28, v26
	s_delay_alu instid0(VALU_DEP_2)
	v_or_b32_e32 v27, v29, v27
	s_cbranch_scc1 .LBB5_401
.LBB5_402:                              ;   in Loop: Header=BB5_377 Depth=2
	s_wait_xcnt 0x0
	s_mov_b64 s[20:21], s[2:3]
	s_mov_b32 s29, 0
	s_cbranch_execz .LBB5_404
	s_branch .LBB5_405
.LBB5_403:                              ;   in Loop: Header=BB5_377 Depth=2
	s_wait_xcnt 0x0
	s_add_nc_u64 s[20:21], s[2:3], 8
                                        ; implicit-def: $vgpr26_vgpr27
	s_mov_b32 s29, 0
.LBB5_404:                              ;   in Loop: Header=BB5_377 Depth=2
	global_load_b64 v[26:27], v1, s[2:3]
	s_add_co_i32 s29, s28, -8
.LBB5_405:                              ;   in Loop: Header=BB5_377 Depth=2
	s_delay_alu instid0(SALU_CYCLE_1)
	s_cmp_gt_u32 s29, 7
	s_cbranch_scc1 .LBB5_410
; %bb.406:                              ;   in Loop: Header=BB5_377 Depth=2
	v_mov_b64_e32 v[28:29], 0
	s_cmp_eq_u32 s29, 0
	s_cbranch_scc1 .LBB5_409
; %bb.407:                              ;   in Loop: Header=BB5_377 Depth=2
	s_wait_xcnt 0x0
	s_mov_b64 s[2:3], 0
	s_mov_b64 s[22:23], 0
.LBB5_408:                              ;   Parent Loop BB5_3 Depth=1
                                        ;     Parent Loop BB5_377 Depth=2
                                        ; =>    This Inner Loop Header: Depth=3
	s_wait_xcnt 0x0
	s_add_nc_u64 s[30:31], s[20:21], s[22:23]
	s_add_nc_u64 s[22:23], s[22:23], 1
	global_load_u8 v0, v1, s[30:31]
	s_cmp_lg_u32 s29, s22
	s_wait_loadcnt 0x0
	v_and_b32_e32 v0, 0xffff, v0
	s_delay_alu instid0(VALU_DEP_1) | instskip(SKIP_1) | instid1(VALU_DEP_1)
	v_lshlrev_b64_e32 v[30:31], s2, v[0:1]
	s_add_nc_u64 s[2:3], s[2:3], 8
	v_or_b32_e32 v28, v30, v28
	s_delay_alu instid0(VALU_DEP_2)
	v_or_b32_e32 v29, v31, v29
	s_cbranch_scc1 .LBB5_408
.LBB5_409:                              ;   in Loop: Header=BB5_377 Depth=2
	s_wait_xcnt 0x0
	s_mov_b64 s[2:3], s[20:21]
	s_mov_b32 s28, 0
	s_cbranch_execz .LBB5_411
	s_branch .LBB5_412
.LBB5_410:                              ;   in Loop: Header=BB5_377 Depth=2
	s_wait_xcnt 0x0
	s_add_nc_u64 s[2:3], s[20:21], 8
	s_mov_b32 s28, 0
.LBB5_411:                              ;   in Loop: Header=BB5_377 Depth=2
	global_load_b64 v[28:29], v1, s[20:21]
	s_add_co_i32 s28, s29, -8
.LBB5_412:                              ;   in Loop: Header=BB5_377 Depth=2
	s_delay_alu instid0(SALU_CYCLE_1)
	s_cmp_gt_u32 s28, 7
	s_cbranch_scc1 .LBB5_417
; %bb.413:                              ;   in Loop: Header=BB5_377 Depth=2
	v_mov_b64_e32 v[30:31], 0
	s_cmp_eq_u32 s28, 0
	s_cbranch_scc1 .LBB5_416
; %bb.414:                              ;   in Loop: Header=BB5_377 Depth=2
	s_wait_xcnt 0x0
	s_mov_b64 s[20:21], 0
	s_mov_b64 s[22:23], 0
.LBB5_415:                              ;   Parent Loop BB5_3 Depth=1
                                        ;     Parent Loop BB5_377 Depth=2
                                        ; =>    This Inner Loop Header: Depth=3
	s_wait_xcnt 0x0
	s_add_nc_u64 s[30:31], s[2:3], s[22:23]
	s_add_nc_u64 s[22:23], s[22:23], 1
	global_load_u8 v0, v1, s[30:31]
	s_cmp_lg_u32 s28, s22
	s_wait_loadcnt 0x0
	v_and_b32_e32 v0, 0xffff, v0
	s_delay_alu instid0(VALU_DEP_1) | instskip(SKIP_1) | instid1(VALU_DEP_1)
	v_lshlrev_b64_e32 v[32:33], s20, v[0:1]
	s_add_nc_u64 s[20:21], s[20:21], 8
	v_or_b32_e32 v30, v32, v30
	s_delay_alu instid0(VALU_DEP_2)
	v_or_b32_e32 v31, v33, v31
	s_cbranch_scc1 .LBB5_415
.LBB5_416:                              ;   in Loop: Header=BB5_377 Depth=2
	s_wait_xcnt 0x0
	s_mov_b64 s[20:21], s[2:3]
	s_mov_b32 s29, 0
	s_cbranch_execz .LBB5_418
	s_branch .LBB5_419
.LBB5_417:                              ;   in Loop: Header=BB5_377 Depth=2
	s_wait_xcnt 0x0
	s_add_nc_u64 s[20:21], s[2:3], 8
                                        ; implicit-def: $vgpr30_vgpr31
	s_mov_b32 s29, 0
.LBB5_418:                              ;   in Loop: Header=BB5_377 Depth=2
	global_load_b64 v[30:31], v1, s[2:3]
	s_add_co_i32 s29, s28, -8
.LBB5_419:                              ;   in Loop: Header=BB5_377 Depth=2
	s_delay_alu instid0(SALU_CYCLE_1)
	s_cmp_gt_u32 s29, 7
	s_cbranch_scc1 .LBB5_424
; %bb.420:                              ;   in Loop: Header=BB5_377 Depth=2
	v_mov_b64_e32 v[32:33], 0
	s_cmp_eq_u32 s29, 0
	s_cbranch_scc1 .LBB5_423
; %bb.421:                              ;   in Loop: Header=BB5_377 Depth=2
	s_wait_xcnt 0x0
	s_mov_b64 s[2:3], 0
	s_mov_b64 s[22:23], s[20:21]
.LBB5_422:                              ;   Parent Loop BB5_3 Depth=1
                                        ;     Parent Loop BB5_377 Depth=2
                                        ; =>    This Inner Loop Header: Depth=3
	global_load_u8 v0, v1, s[22:23]
	s_add_co_i32 s29, s29, -1
	s_wait_xcnt 0x0
	s_add_nc_u64 s[22:23], s[22:23], 1
	s_cmp_lg_u32 s29, 0
	s_wait_loadcnt 0x0
	v_and_b32_e32 v0, 0xffff, v0
	s_delay_alu instid0(VALU_DEP_1) | instskip(SKIP_1) | instid1(VALU_DEP_1)
	v_lshlrev_b64_e32 v[34:35], s2, v[0:1]
	s_add_nc_u64 s[2:3], s[2:3], 8
	v_or_b32_e32 v32, v34, v32
	s_delay_alu instid0(VALU_DEP_2)
	v_or_b32_e32 v33, v35, v33
	s_cbranch_scc1 .LBB5_422
.LBB5_423:                              ;   in Loop: Header=BB5_377 Depth=2
	s_wait_xcnt 0x0
	s_cbranch_execz .LBB5_425
	s_branch .LBB5_426
.LBB5_424:                              ;   in Loop: Header=BB5_377 Depth=2
	s_wait_xcnt 0x0
.LBB5_425:                              ;   in Loop: Header=BB5_377 Depth=2
	global_load_b64 v[32:33], v1, s[20:21]
.LBB5_426:                              ;   in Loop: Header=BB5_377 Depth=2
	v_readfirstlane_b32 s2, v38
	v_mov_b64_e32 v[52:53], 0
	s_delay_alu instid0(VALU_DEP_2)
	v_cmp_eq_u32_e64 s2, s2, v38
	s_wait_xcnt 0x0
	s_and_saveexec_b32 s3, s2
	s_cbranch_execz .LBB5_432
; %bb.427:                              ;   in Loop: Header=BB5_377 Depth=2
	global_load_b64 v[36:37], v1, s[12:13] offset:24 scope:SCOPE_SYS
	s_wait_loadcnt 0x0
	global_inv scope:SCOPE_SYS
	s_clause 0x1
	global_load_b64 v[34:35], v1, s[12:13] offset:40
	global_load_b64 v[52:53], v1, s[12:13]
	s_mov_b32 s20, exec_lo
	s_wait_loadcnt 0x1
	v_and_b32_e32 v34, v34, v36
	v_and_b32_e32 v35, v35, v37
	s_delay_alu instid0(VALU_DEP_1) | instskip(SKIP_1) | instid1(VALU_DEP_1)
	v_mul_u64_e32 v[34:35], 24, v[34:35]
	s_wait_loadcnt 0x0
	v_add_nc_u64_e32 v[34:35], v[52:53], v[34:35]
	global_load_b64 v[34:35], v[34:35], off scope:SCOPE_SYS
	s_wait_xcnt 0x0
	s_wait_loadcnt 0x0
	global_atomic_cmpswap_b64 v[52:53], v1, v[34:37], s[12:13] offset:24 th:TH_ATOMIC_RETURN scope:SCOPE_SYS
	s_wait_loadcnt 0x0
	global_inv scope:SCOPE_SYS
	s_wait_xcnt 0x0
	v_cmpx_ne_u64_e64 v[52:53], v[36:37]
	s_cbranch_execz .LBB5_431
; %bb.428:                              ;   in Loop: Header=BB5_377 Depth=2
	s_mov_b32 s21, 0
.LBB5_429:                              ;   Parent Loop BB5_3 Depth=1
                                        ;     Parent Loop BB5_377 Depth=2
                                        ; =>    This Inner Loop Header: Depth=3
	s_sleep 1
	s_clause 0x1
	global_load_b64 v[34:35], v1, s[12:13] offset:40
	global_load_b64 v[54:55], v1, s[12:13]
	v_mov_b64_e32 v[36:37], v[52:53]
	s_wait_loadcnt 0x1
	s_delay_alu instid0(VALU_DEP_1) | instskip(SKIP_1) | instid1(VALU_DEP_1)
	v_and_b32_e32 v0, v34, v36
	s_wait_loadcnt 0x0
	v_mad_nc_u64_u32 v[52:53], v0, 24, v[54:55]
	s_delay_alu instid0(VALU_DEP_3) | instskip(NEXT) | instid1(VALU_DEP_1)
	v_and_b32_e32 v0, v35, v37
	v_mad_u32 v53, v0, 24, v53
	global_load_b64 v[34:35], v[52:53], off scope:SCOPE_SYS
	s_wait_xcnt 0x0
	s_wait_loadcnt 0x0
	global_atomic_cmpswap_b64 v[52:53], v1, v[34:37], s[12:13] offset:24 th:TH_ATOMIC_RETURN scope:SCOPE_SYS
	s_wait_loadcnt 0x0
	global_inv scope:SCOPE_SYS
	v_cmp_eq_u64_e32 vcc_lo, v[52:53], v[36:37]
	s_or_b32 s21, vcc_lo, s21
	s_wait_xcnt 0x0
	s_and_not1_b32 exec_lo, exec_lo, s21
	s_cbranch_execnz .LBB5_429
; %bb.430:                              ;   in Loop: Header=BB5_377 Depth=2
	s_or_b32 exec_lo, exec_lo, s21
.LBB5_431:                              ;   in Loop: Header=BB5_377 Depth=2
	s_delay_alu instid0(SALU_CYCLE_1)
	s_or_b32 exec_lo, exec_lo, s20
.LBB5_432:                              ;   in Loop: Header=BB5_377 Depth=2
	s_delay_alu instid0(SALU_CYCLE_1)
	s_or_b32 exec_lo, exec_lo, s3
	s_clause 0x1
	global_load_b64 v[54:55], v1, s[12:13] offset:40
	global_load_b128 v[34:37], v1, s[12:13]
	v_readfirstlane_b32 s20, v52
	v_readfirstlane_b32 s21, v53
	s_mov_b32 s3, exec_lo
	s_wait_loadcnt 0x1
	v_and_b32_e32 v54, s20, v54
	v_and_b32_e32 v55, s21, v55
	s_delay_alu instid0(VALU_DEP_1) | instskip(SKIP_1) | instid1(VALU_DEP_1)
	v_mul_u64_e32 v[52:53], 24, v[54:55]
	s_wait_loadcnt 0x0
	v_add_nc_u64_e32 v[52:53], v[34:35], v[52:53]
	s_wait_xcnt 0x0
	s_and_saveexec_b32 s22, s2
	s_cbranch_execz .LBB5_434
; %bb.433:                              ;   in Loop: Header=BB5_377 Depth=2
	v_mov_b32_e32 v0, s3
	global_store_b128 v[52:53], v[0:3], off offset:8
.LBB5_434:                              ;   in Loop: Header=BB5_377 Depth=2
	s_wait_xcnt 0x0
	s_or_b32 exec_lo, exec_lo, s22
	v_cmp_lt_u64_e64 vcc_lo, s[16:17], 57
	v_lshlrev_b64_e32 v[54:55], 12, v[54:55]
	v_and_b32_e32 v5, 0xffffff1f, v18
	s_lshl_b32 s3, s18, 2
	s_delay_alu instid0(SALU_CYCLE_1) | instskip(SKIP_1) | instid1(VALU_DEP_3)
	s_add_co_i32 s3, s3, 28
	v_cndmask_b32_e32 v0, 0, v6, vcc_lo
	v_add_nc_u64_e32 v[36:37], v[36:37], v[54:55]
	s_delay_alu instid0(VALU_DEP_2) | instskip(NEXT) | instid1(VALU_DEP_2)
	v_or_b32_e32 v0, v5, v0
	v_readfirstlane_b32 s22, v36
	s_delay_alu instid0(VALU_DEP_3) | instskip(NEXT) | instid1(VALU_DEP_3)
	v_readfirstlane_b32 s23, v37
	v_and_or_b32 v18, 0x1e0, s3, v0
	s_clause 0x3
	global_store_b128 v46, v[18:21], s[22:23]
	global_store_b128 v46, v[22:25], s[22:23] offset:16
	global_store_b128 v46, v[26:29], s[22:23] offset:32
	global_store_b128 v46, v[30:33], s[22:23] offset:48
	s_wait_xcnt 0x0
	s_and_saveexec_b32 s3, s2
	s_cbranch_execz .LBB5_442
; %bb.435:                              ;   in Loop: Header=BB5_377 Depth=2
	s_clause 0x1
	global_load_b64 v[26:27], v1, s[12:13] offset:32 scope:SCOPE_SYS
	global_load_b64 v[18:19], v1, s[12:13] offset:40
	s_mov_b32 s22, exec_lo
	v_dual_mov_b32 v24, s20 :: v_dual_mov_b32 v25, s21
	s_wait_loadcnt 0x0
	v_and_b32_e32 v19, s21, v19
	v_and_b32_e32 v18, s20, v18
	s_delay_alu instid0(VALU_DEP_1) | instskip(NEXT) | instid1(VALU_DEP_1)
	v_mul_u64_e32 v[18:19], 24, v[18:19]
	v_add_nc_u64_e32 v[22:23], v[34:35], v[18:19]
	global_store_b64 v[22:23], v[26:27], off
	global_wb scope:SCOPE_SYS
	s_wait_storecnt 0x0
	s_wait_xcnt 0x0
	global_atomic_cmpswap_b64 v[20:21], v1, v[24:27], s[12:13] offset:32 th:TH_ATOMIC_RETURN scope:SCOPE_SYS
	s_wait_loadcnt 0x0
	v_cmpx_ne_u64_e64 v[20:21], v[26:27]
	s_cbranch_execz .LBB5_438
; %bb.436:                              ;   in Loop: Header=BB5_377 Depth=2
	s_mov_b32 s23, 0
.LBB5_437:                              ;   Parent Loop BB5_3 Depth=1
                                        ;     Parent Loop BB5_377 Depth=2
                                        ; =>    This Inner Loop Header: Depth=3
	v_dual_mov_b32 v18, s20 :: v_dual_mov_b32 v19, s21
	s_sleep 1
	global_store_b64 v[22:23], v[20:21], off
	global_wb scope:SCOPE_SYS
	s_wait_storecnt 0x0
	s_wait_xcnt 0x0
	global_atomic_cmpswap_b64 v[18:19], v1, v[18:21], s[12:13] offset:32 th:TH_ATOMIC_RETURN scope:SCOPE_SYS
	s_wait_loadcnt 0x0
	v_cmp_eq_u64_e32 vcc_lo, v[18:19], v[20:21]
	v_mov_b64_e32 v[20:21], v[18:19]
	s_or_b32 s23, vcc_lo, s23
	s_delay_alu instid0(SALU_CYCLE_1)
	s_and_not1_b32 exec_lo, exec_lo, s23
	s_cbranch_execnz .LBB5_437
.LBB5_438:                              ;   in Loop: Header=BB5_377 Depth=2
	s_or_b32 exec_lo, exec_lo, s22
	global_load_b64 v[18:19], v1, s[12:13] offset:16
	s_mov_b32 s23, exec_lo
	s_mov_b32 s22, exec_lo
	v_mbcnt_lo_u32_b32 v0, s23, 0
	s_wait_xcnt 0x0
	s_delay_alu instid0(VALU_DEP_1)
	v_cmpx_eq_u32_e32 0, v0
	s_cbranch_execz .LBB5_440
; %bb.439:                              ;   in Loop: Header=BB5_377 Depth=2
	s_bcnt1_i32_b32 s23, s23
	s_delay_alu instid0(SALU_CYCLE_1)
	v_mov_b32_e32 v0, s23
	global_wb scope:SCOPE_SYS
	s_wait_loadcnt 0x0
	s_wait_storecnt 0x0
	global_atomic_add_u64 v[18:19], v[0:1], off offset:8 scope:SCOPE_SYS
.LBB5_440:                              ;   in Loop: Header=BB5_377 Depth=2
	s_wait_xcnt 0x0
	s_or_b32 exec_lo, exec_lo, s22
	s_wait_loadcnt 0x0
	global_load_b64 v[20:21], v[18:19], off offset:16
	s_wait_loadcnt 0x0
	v_cmp_eq_u64_e32 vcc_lo, 0, v[20:21]
	s_cbranch_vccnz .LBB5_442
; %bb.441:                              ;   in Loop: Header=BB5_377 Depth=2
	global_load_b32 v0, v[18:19], off offset:24
	s_wait_loadcnt 0x0
	v_readfirstlane_b32 s22, v0
	global_wb scope:SCOPE_SYS
	s_wait_storecnt 0x0
	s_wait_xcnt 0x0
	global_store_b64 v[20:21], v[0:1], off scope:SCOPE_SYS
	s_and_b32 m0, s22, 0xffffff
	s_sendmsg sendmsg(MSG_INTERRUPT)
.LBB5_442:                              ;   in Loop: Header=BB5_377 Depth=2
	s_wait_xcnt 0x0
	s_or_b32 exec_lo, exec_lo, s3
	v_mov_b32_e32 v47, v1
	s_delay_alu instid0(VALU_DEP_1)
	v_add_nc_u64_e32 v[18:19], v[36:37], v[46:47]
	s_branch .LBB5_446
.LBB5_443:                              ;   in Loop: Header=BB5_446 Depth=3
	s_wait_xcnt 0x0
	s_or_b32 exec_lo, exec_lo, s3
	s_delay_alu instid0(VALU_DEP_1)
	v_readfirstlane_b32 s3, v0
	s_cmp_eq_u32 s3, 0
	s_cbranch_scc1 .LBB5_445
; %bb.444:                              ;   in Loop: Header=BB5_446 Depth=3
	s_sleep 1
	s_cbranch_execnz .LBB5_446
	s_branch .LBB5_448
.LBB5_445:                              ;   in Loop: Header=BB5_377 Depth=2
	s_branch .LBB5_448
.LBB5_446:                              ;   Parent Loop BB5_3 Depth=1
                                        ;     Parent Loop BB5_377 Depth=2
                                        ; =>    This Inner Loop Header: Depth=3
	v_mov_b32_e32 v0, 1
	s_and_saveexec_b32 s3, s2
	s_cbranch_execz .LBB5_443
; %bb.447:                              ;   in Loop: Header=BB5_446 Depth=3
	global_load_b32 v0, v[52:53], off offset:20 scope:SCOPE_SYS
	s_wait_loadcnt 0x0
	global_inv scope:SCOPE_SYS
	v_and_b32_e32 v0, 1, v0
	s_branch .LBB5_443
.LBB5_448:                              ;   in Loop: Header=BB5_377 Depth=2
	global_load_b64 v[18:19], v[18:19], off
	s_wait_xcnt 0x0
	s_and_saveexec_b32 s22, s2
	s_cbranch_execz .LBB5_376
; %bb.449:                              ;   in Loop: Header=BB5_377 Depth=2
	s_clause 0x2
	global_load_b64 v[20:21], v1, s[12:13] offset:40
	global_load_b64 v[28:29], v1, s[12:13] offset:24 scope:SCOPE_SYS
	global_load_b64 v[22:23], v1, s[12:13]
	s_wait_loadcnt 0x2
	v_readfirstlane_b32 s28, v20
	v_readfirstlane_b32 s29, v21
	s_add_nc_u64 s[2:3], s[28:29], 1
	s_delay_alu instid0(SALU_CYCLE_1) | instskip(NEXT) | instid1(SALU_CYCLE_1)
	s_add_nc_u64 s[20:21], s[2:3], s[20:21]
	s_cmp_eq_u64 s[20:21], 0
	s_cselect_b32 s3, s3, s21
	s_cselect_b32 s2, s2, s20
	s_delay_alu instid0(SALU_CYCLE_1) | instskip(SKIP_1) | instid1(SALU_CYCLE_1)
	v_dual_mov_b32 v27, s3 :: v_dual_mov_b32 v26, s2
	s_and_b64 s[20:21], s[2:3], s[28:29]
	s_mul_u64 s[20:21], s[20:21], 24
	s_wait_loadcnt 0x0
	v_add_nc_u64_e32 v[24:25], s[20:21], v[22:23]
	global_store_b64 v[24:25], v[28:29], off
	global_wb scope:SCOPE_SYS
	s_wait_storecnt 0x0
	s_wait_xcnt 0x0
	global_atomic_cmpswap_b64 v[22:23], v1, v[26:29], s[12:13] offset:24 th:TH_ATOMIC_RETURN scope:SCOPE_SYS
	s_wait_loadcnt 0x0
	v_cmp_ne_u64_e32 vcc_lo, v[22:23], v[28:29]
	s_and_b32 exec_lo, exec_lo, vcc_lo
	s_cbranch_execz .LBB5_376
; %bb.450:                              ;   in Loop: Header=BB5_377 Depth=2
	s_mov_b32 s20, 0
.LBB5_451:                              ;   Parent Loop BB5_3 Depth=1
                                        ;     Parent Loop BB5_377 Depth=2
                                        ; =>    This Inner Loop Header: Depth=3
	v_dual_mov_b32 v20, s2 :: v_dual_mov_b32 v21, s3
	s_sleep 1
	global_store_b64 v[24:25], v[22:23], off
	global_wb scope:SCOPE_SYS
	s_wait_storecnt 0x0
	s_wait_xcnt 0x0
	global_atomic_cmpswap_b64 v[20:21], v1, v[20:23], s[12:13] offset:24 th:TH_ATOMIC_RETURN scope:SCOPE_SYS
	s_wait_loadcnt 0x0
	v_cmp_eq_u64_e32 vcc_lo, v[20:21], v[22:23]
	v_mov_b64_e32 v[22:23], v[20:21]
	s_or_b32 s20, vcc_lo, s20
	s_delay_alu instid0(SALU_CYCLE_1)
	s_and_not1_b32 exec_lo, exec_lo, s20
	s_cbranch_execnz .LBB5_451
	s_branch .LBB5_376
.LBB5_452:                              ;   in Loop: Header=BB5_3 Depth=1
	s_branch .LBB5_509
.LBB5_453:                              ;   in Loop: Header=BB5_3 Depth=1
                                        ; implicit-def: $vgpr16_vgpr17
	s_cbranch_execz .LBB5_374
; %bb.454:                              ;   in Loop: Header=BB5_3 Depth=1
	v_readfirstlane_b32 s2, v38
	v_mov_b64_e32 v[6:7], 0
	s_delay_alu instid0(VALU_DEP_2)
	v_cmp_eq_u32_e64 s2, s2, v38
	s_and_saveexec_b32 s3, s2
	s_cbranch_execz .LBB5_460
; %bb.455:                              ;   in Loop: Header=BB5_3 Depth=1
	global_load_b64 v[18:19], v1, s[12:13] offset:24 scope:SCOPE_SYS
	s_wait_loadcnt 0x0
	global_inv scope:SCOPE_SYS
	s_clause 0x1
	global_load_b64 v[6:7], v1, s[12:13] offset:40
	global_load_b64 v[16:17], v1, s[12:13]
	s_mov_b32 s14, exec_lo
	s_wait_loadcnt 0x1
	v_and_b32_e32 v6, v6, v18
	v_and_b32_e32 v7, v7, v19
	s_delay_alu instid0(VALU_DEP_1) | instskip(SKIP_1) | instid1(VALU_DEP_1)
	v_mul_u64_e32 v[6:7], 24, v[6:7]
	s_wait_loadcnt 0x0
	v_add_nc_u64_e32 v[6:7], v[16:17], v[6:7]
	global_load_b64 v[16:17], v[6:7], off scope:SCOPE_SYS
	s_wait_xcnt 0x0
	s_wait_loadcnt 0x0
	global_atomic_cmpswap_b64 v[6:7], v1, v[16:19], s[12:13] offset:24 th:TH_ATOMIC_RETURN scope:SCOPE_SYS
	s_wait_loadcnt 0x0
	global_inv scope:SCOPE_SYS
	s_wait_xcnt 0x0
	v_cmpx_ne_u64_e64 v[6:7], v[18:19]
	s_cbranch_execz .LBB5_459
; %bb.456:                              ;   in Loop: Header=BB5_3 Depth=1
	s_mov_b32 s15, 0
.LBB5_457:                              ;   Parent Loop BB5_3 Depth=1
                                        ; =>  This Inner Loop Header: Depth=2
	s_sleep 1
	s_clause 0x1
	global_load_b64 v[16:17], v1, s[12:13] offset:40
	global_load_b64 v[22:23], v1, s[12:13]
	v_mov_b64_e32 v[18:19], v[6:7]
	s_wait_loadcnt 0x1
	s_delay_alu instid0(VALU_DEP_1) | instskip(SKIP_1) | instid1(VALU_DEP_1)
	v_and_b32_e32 v0, v16, v18
	s_wait_loadcnt 0x0
	v_mad_nc_u64_u32 v[6:7], v0, 24, v[22:23]
	s_delay_alu instid0(VALU_DEP_3) | instskip(NEXT) | instid1(VALU_DEP_1)
	v_and_b32_e32 v0, v17, v19
	v_mad_u32 v7, v0, 24, v7
	global_load_b64 v[16:17], v[6:7], off scope:SCOPE_SYS
	s_wait_xcnt 0x0
	s_wait_loadcnt 0x0
	global_atomic_cmpswap_b64 v[6:7], v1, v[16:19], s[12:13] offset:24 th:TH_ATOMIC_RETURN scope:SCOPE_SYS
	s_wait_loadcnt 0x0
	global_inv scope:SCOPE_SYS
	v_cmp_eq_u64_e32 vcc_lo, v[6:7], v[18:19]
	s_or_b32 s15, vcc_lo, s15
	s_wait_xcnt 0x0
	s_and_not1_b32 exec_lo, exec_lo, s15
	s_cbranch_execnz .LBB5_457
; %bb.458:                              ;   in Loop: Header=BB5_3 Depth=1
	s_or_b32 exec_lo, exec_lo, s15
.LBB5_459:                              ;   in Loop: Header=BB5_3 Depth=1
	s_delay_alu instid0(SALU_CYCLE_1)
	s_or_b32 exec_lo, exec_lo, s14
.LBB5_460:                              ;   in Loop: Header=BB5_3 Depth=1
	s_delay_alu instid0(SALU_CYCLE_1)
	s_or_b32 exec_lo, exec_lo, s3
	global_load_b64 v[22:23], v1, s[12:13] offset:40
	s_wait_loadcnt 0x1
	global_load_b128 v[16:19], v1, s[12:13]
	v_readfirstlane_b32 s14, v6
	v_readfirstlane_b32 s15, v7
	s_mov_b32 s3, exec_lo
	s_wait_loadcnt 0x1
	v_and_b32_e32 v22, s14, v22
	v_and_b32_e32 v23, s15, v23
	s_delay_alu instid0(VALU_DEP_1) | instskip(SKIP_1) | instid1(VALU_DEP_1)
	v_mul_u64_e32 v[6:7], 24, v[22:23]
	s_wait_loadcnt 0x0
	v_add_nc_u64_e32 v[6:7], v[16:17], v[6:7]
	s_wait_xcnt 0x0
	s_and_saveexec_b32 s16, s2
	s_cbranch_execz .LBB5_462
; %bb.461:                              ;   in Loop: Header=BB5_3 Depth=1
	v_mov_b32_e32 v0, s3
	global_store_b128 v[6:7], v[0:3], off offset:8
.LBB5_462:                              ;   in Loop: Header=BB5_3 Depth=1
	s_wait_xcnt 0x0
	s_or_b32 exec_lo, exec_lo, s16
	v_lshlrev_b64_e32 v[22:23], 12, v[22:23]
	v_mov_b64_e32 v[28:29], s[6:7]
	v_mov_b64_e32 v[26:27], s[4:5]
	v_and_or_b32 v20, 0xffffff1f, v20, 32
	s_delay_alu instid0(VALU_DEP_4) | instskip(SKIP_1) | instid1(VALU_DEP_2)
	v_add_nc_u64_e32 v[24:25], v[18:19], v[22:23]
	v_dual_mov_b32 v22, v1 :: v_dual_mov_b32 v23, v1
	v_readfirstlane_b32 s16, v24
	s_delay_alu instid0(VALU_DEP_3)
	v_readfirstlane_b32 s17, v25
	s_clause 0x3
	global_store_b128 v46, v[20:23], s[16:17]
	global_store_b128 v46, v[26:29], s[16:17] offset:16
	global_store_b128 v46, v[26:29], s[16:17] offset:32
	;; [unrolled: 1-line block ×3, first 2 shown]
	s_wait_xcnt 0x0
	s_and_saveexec_b32 s3, s2
	s_cbranch_execz .LBB5_470
; %bb.463:                              ;   in Loop: Header=BB5_3 Depth=1
	s_clause 0x1
	global_load_b64 v[28:29], v1, s[12:13] offset:32 scope:SCOPE_SYS
	global_load_b64 v[18:19], v1, s[12:13] offset:40
	s_mov_b32 s16, exec_lo
	v_dual_mov_b32 v26, s14 :: v_dual_mov_b32 v27, s15
	s_wait_loadcnt 0x0
	v_and_b32_e32 v19, s15, v19
	v_and_b32_e32 v18, s14, v18
	s_delay_alu instid0(VALU_DEP_1) | instskip(NEXT) | instid1(VALU_DEP_1)
	v_mul_u64_e32 v[18:19], 24, v[18:19]
	v_add_nc_u64_e32 v[20:21], v[16:17], v[18:19]
	global_store_b64 v[20:21], v[28:29], off
	global_wb scope:SCOPE_SYS
	s_wait_storecnt 0x0
	s_wait_xcnt 0x0
	global_atomic_cmpswap_b64 v[18:19], v1, v[26:29], s[12:13] offset:32 th:TH_ATOMIC_RETURN scope:SCOPE_SYS
	s_wait_loadcnt 0x0
	s_wait_xcnt 0x0
	v_cmpx_ne_u64_e64 v[18:19], v[28:29]
	s_cbranch_execz .LBB5_466
; %bb.464:                              ;   in Loop: Header=BB5_3 Depth=1
	s_mov_b32 s17, 0
.LBB5_465:                              ;   Parent Loop BB5_3 Depth=1
                                        ; =>  This Inner Loop Header: Depth=2
	v_dual_mov_b32 v16, s14 :: v_dual_mov_b32 v17, s15
	s_sleep 1
	global_store_b64 v[20:21], v[18:19], off
	global_wb scope:SCOPE_SYS
	s_wait_storecnt 0x0
	s_wait_xcnt 0x0
	global_atomic_cmpswap_b64 v[16:17], v1, v[16:19], s[12:13] offset:32 th:TH_ATOMIC_RETURN scope:SCOPE_SYS
	s_wait_loadcnt 0x0
	v_cmp_eq_u64_e32 vcc_lo, v[16:17], v[18:19]
	s_wait_xcnt 0x0
	v_mov_b64_e32 v[18:19], v[16:17]
	s_or_b32 s17, vcc_lo, s17
	s_delay_alu instid0(SALU_CYCLE_1)
	s_and_not1_b32 exec_lo, exec_lo, s17
	s_cbranch_execnz .LBB5_465
.LBB5_466:                              ;   in Loop: Header=BB5_3 Depth=1
	s_or_b32 exec_lo, exec_lo, s16
	global_load_b64 v[16:17], v1, s[12:13] offset:16
	s_mov_b32 s17, exec_lo
	s_mov_b32 s16, exec_lo
	v_mbcnt_lo_u32_b32 v0, s17, 0
	s_wait_xcnt 0x0
	s_delay_alu instid0(VALU_DEP_1)
	v_cmpx_eq_u32_e32 0, v0
	s_cbranch_execz .LBB5_468
; %bb.467:                              ;   in Loop: Header=BB5_3 Depth=1
	s_bcnt1_i32_b32 s17, s17
	s_delay_alu instid0(SALU_CYCLE_1)
	v_mov_b32_e32 v0, s17
	global_wb scope:SCOPE_SYS
	s_wait_loadcnt 0x0
	s_wait_storecnt 0x0
	global_atomic_add_u64 v[16:17], v[0:1], off offset:8 scope:SCOPE_SYS
.LBB5_468:                              ;   in Loop: Header=BB5_3 Depth=1
	s_wait_xcnt 0x0
	s_or_b32 exec_lo, exec_lo, s16
	s_wait_loadcnt 0x0
	global_load_b64 v[18:19], v[16:17], off offset:16
	s_wait_loadcnt 0x0
	v_cmp_eq_u64_e32 vcc_lo, 0, v[18:19]
	s_cbranch_vccnz .LBB5_470
; %bb.469:                              ;   in Loop: Header=BB5_3 Depth=1
	global_load_b32 v0, v[16:17], off offset:24
	s_wait_loadcnt 0x0
	v_readfirstlane_b32 s16, v0
	global_wb scope:SCOPE_SYS
	s_wait_storecnt 0x0
	s_wait_xcnt 0x0
	global_store_b64 v[18:19], v[0:1], off scope:SCOPE_SYS
	s_and_b32 m0, s16, 0xffffff
	s_sendmsg sendmsg(MSG_INTERRUPT)
.LBB5_470:                              ;   in Loop: Header=BB5_3 Depth=1
	s_wait_xcnt 0x0
	s_or_b32 exec_lo, exec_lo, s3
	v_mov_b32_e32 v47, v1
	s_delay_alu instid0(VALU_DEP_1)
	v_add_nc_u64_e32 v[16:17], v[24:25], v[46:47]
	s_branch .LBB5_474
.LBB5_471:                              ;   in Loop: Header=BB5_474 Depth=2
	s_wait_xcnt 0x0
	s_or_b32 exec_lo, exec_lo, s3
	s_delay_alu instid0(VALU_DEP_1)
	v_readfirstlane_b32 s3, v0
	s_cmp_eq_u32 s3, 0
	s_cbranch_scc1 .LBB5_473
; %bb.472:                              ;   in Loop: Header=BB5_474 Depth=2
	s_sleep 1
	s_cbranch_execnz .LBB5_474
	s_branch .LBB5_476
.LBB5_473:                              ;   in Loop: Header=BB5_3 Depth=1
	s_branch .LBB5_476
.LBB5_474:                              ;   Parent Loop BB5_3 Depth=1
                                        ; =>  This Inner Loop Header: Depth=2
	v_mov_b32_e32 v0, 1
	s_and_saveexec_b32 s3, s2
	s_cbranch_execz .LBB5_471
; %bb.475:                              ;   in Loop: Header=BB5_474 Depth=2
	global_load_b32 v0, v[6:7], off offset:20 scope:SCOPE_SYS
	s_wait_loadcnt 0x0
	global_inv scope:SCOPE_SYS
	v_and_b32_e32 v0, 1, v0
	s_branch .LBB5_471
.LBB5_476:                              ;   in Loop: Header=BB5_3 Depth=1
	global_load_b64 v[16:17], v[16:17], off
	s_wait_xcnt 0x0
	s_and_saveexec_b32 s16, s2
	s_cbranch_execz .LBB5_480
; %bb.477:                              ;   in Loop: Header=BB5_3 Depth=1
	s_clause 0x2
	global_load_b64 v[6:7], v1, s[12:13] offset:40
	global_load_b64 v[22:23], v1, s[12:13] offset:24 scope:SCOPE_SYS
	global_load_b64 v[18:19], v1, s[12:13]
	s_wait_loadcnt 0x2
	v_readfirstlane_b32 s18, v6
	v_readfirstlane_b32 s19, v7
	s_add_nc_u64 s[2:3], s[18:19], 1
	s_delay_alu instid0(SALU_CYCLE_1) | instskip(NEXT) | instid1(SALU_CYCLE_1)
	s_add_nc_u64 s[14:15], s[2:3], s[14:15]
	s_cmp_eq_u64 s[14:15], 0
	s_cselect_b32 s3, s3, s15
	s_cselect_b32 s2, s2, s14
	s_delay_alu instid0(SALU_CYCLE_1) | instskip(SKIP_1) | instid1(SALU_CYCLE_1)
	v_dual_mov_b32 v21, s3 :: v_dual_mov_b32 v20, s2
	s_and_b64 s[14:15], s[2:3], s[18:19]
	s_mul_u64 s[14:15], s[14:15], 24
	s_wait_loadcnt 0x0
	v_add_nc_u64_e32 v[6:7], s[14:15], v[18:19]
	global_store_b64 v[6:7], v[22:23], off
	global_wb scope:SCOPE_SYS
	s_wait_storecnt 0x0
	s_wait_xcnt 0x0
	global_atomic_cmpswap_b64 v[20:21], v1, v[20:23], s[12:13] offset:24 th:TH_ATOMIC_RETURN scope:SCOPE_SYS
	s_wait_loadcnt 0x0
	v_cmp_ne_u64_e32 vcc_lo, v[20:21], v[22:23]
	s_wait_xcnt 0x0
	s_and_b32 exec_lo, exec_lo, vcc_lo
	s_cbranch_execz .LBB5_480
; %bb.478:                              ;   in Loop: Header=BB5_3 Depth=1
	s_mov_b32 s14, 0
.LBB5_479:                              ;   Parent Loop BB5_3 Depth=1
                                        ; =>  This Inner Loop Header: Depth=2
	v_dual_mov_b32 v18, s2 :: v_dual_mov_b32 v19, s3
	s_sleep 1
	global_store_b64 v[6:7], v[20:21], off
	global_wb scope:SCOPE_SYS
	s_wait_storecnt 0x0
	s_wait_xcnt 0x0
	global_atomic_cmpswap_b64 v[18:19], v1, v[18:21], s[12:13] offset:24 th:TH_ATOMIC_RETURN scope:SCOPE_SYS
	s_wait_loadcnt 0x0
	v_cmp_eq_u64_e32 vcc_lo, v[18:19], v[20:21]
	s_wait_xcnt 0x0
	v_mov_b64_e32 v[20:21], v[18:19]
	s_or_b32 s14, vcc_lo, s14
	s_delay_alu instid0(SALU_CYCLE_1)
	s_and_not1_b32 exec_lo, exec_lo, s14
	s_cbranch_execnz .LBB5_479
.LBB5_480:                              ;   in Loop: Header=BB5_3 Depth=1
	s_or_b32 exec_lo, exec_lo, s16
	s_delay_alu instid0(SALU_CYCLE_1)
	s_and_b32 vcc_lo, exec_lo, s26
	s_cbranch_vccnz .LBB5_375
.LBB5_481:                              ;   in Loop: Header=BB5_3 Depth=1
                                        ; implicit-def: $vgpr18_vgpr19
	s_cbranch_execz .LBB5_509
; %bb.482:                              ;   in Loop: Header=BB5_3 Depth=1
	v_readfirstlane_b32 s2, v38
	v_mov_b64_e32 v[6:7], 0
	s_delay_alu instid0(VALU_DEP_2)
	v_cmp_eq_u32_e64 s2, s2, v38
	s_and_saveexec_b32 s3, s2
	s_cbranch_execz .LBB5_488
; %bb.483:                              ;   in Loop: Header=BB5_3 Depth=1
	s_wait_loadcnt 0x0
	global_load_b64 v[20:21], v1, s[12:13] offset:24 scope:SCOPE_SYS
	s_wait_loadcnt 0x0
	global_inv scope:SCOPE_SYS
	s_clause 0x1
	global_load_b64 v[6:7], v1, s[12:13] offset:40
	global_load_b64 v[18:19], v1, s[12:13]
	s_mov_b32 s14, exec_lo
	s_wait_loadcnt 0x1
	v_and_b32_e32 v6, v6, v20
	v_and_b32_e32 v7, v7, v21
	s_delay_alu instid0(VALU_DEP_1) | instskip(SKIP_1) | instid1(VALU_DEP_1)
	v_mul_u64_e32 v[6:7], 24, v[6:7]
	s_wait_loadcnt 0x0
	v_add_nc_u64_e32 v[6:7], v[18:19], v[6:7]
	global_load_b64 v[18:19], v[6:7], off scope:SCOPE_SYS
	s_wait_xcnt 0x0
	s_wait_loadcnt 0x0
	global_atomic_cmpswap_b64 v[6:7], v1, v[18:21], s[12:13] offset:24 th:TH_ATOMIC_RETURN scope:SCOPE_SYS
	s_wait_loadcnt 0x0
	global_inv scope:SCOPE_SYS
	s_wait_xcnt 0x0
	v_cmpx_ne_u64_e64 v[6:7], v[20:21]
	s_cbranch_execz .LBB5_487
; %bb.484:                              ;   in Loop: Header=BB5_3 Depth=1
	s_mov_b32 s15, 0
.LBB5_485:                              ;   Parent Loop BB5_3 Depth=1
                                        ; =>  This Inner Loop Header: Depth=2
	s_sleep 1
	s_clause 0x1
	global_load_b64 v[18:19], v1, s[12:13] offset:40
	global_load_b64 v[22:23], v1, s[12:13]
	v_mov_b64_e32 v[20:21], v[6:7]
	s_wait_loadcnt 0x1
	s_delay_alu instid0(VALU_DEP_1) | instskip(SKIP_1) | instid1(VALU_DEP_1)
	v_and_b32_e32 v0, v18, v20
	s_wait_loadcnt 0x0
	v_mad_nc_u64_u32 v[6:7], v0, 24, v[22:23]
	s_delay_alu instid0(VALU_DEP_3) | instskip(NEXT) | instid1(VALU_DEP_1)
	v_and_b32_e32 v0, v19, v21
	v_mad_u32 v7, v0, 24, v7
	global_load_b64 v[18:19], v[6:7], off scope:SCOPE_SYS
	s_wait_xcnt 0x0
	s_wait_loadcnt 0x0
	global_atomic_cmpswap_b64 v[6:7], v1, v[18:21], s[12:13] offset:24 th:TH_ATOMIC_RETURN scope:SCOPE_SYS
	s_wait_loadcnt 0x0
	global_inv scope:SCOPE_SYS
	v_cmp_eq_u64_e32 vcc_lo, v[6:7], v[20:21]
	s_or_b32 s15, vcc_lo, s15
	s_wait_xcnt 0x0
	s_and_not1_b32 exec_lo, exec_lo, s15
	s_cbranch_execnz .LBB5_485
; %bb.486:                              ;   in Loop: Header=BB5_3 Depth=1
	s_or_b32 exec_lo, exec_lo, s15
.LBB5_487:                              ;   in Loop: Header=BB5_3 Depth=1
	s_delay_alu instid0(SALU_CYCLE_1)
	s_or_b32 exec_lo, exec_lo, s14
.LBB5_488:                              ;   in Loop: Header=BB5_3 Depth=1
	s_delay_alu instid0(SALU_CYCLE_1)
	s_or_b32 exec_lo, exec_lo, s3
	s_wait_loadcnt 0x0
	s_clause 0x1
	global_load_b64 v[18:19], v1, s[12:13] offset:40
	global_load_b128 v[20:23], v1, s[12:13]
	v_readfirstlane_b32 s14, v6
	v_readfirstlane_b32 s15, v7
	s_mov_b32 s3, exec_lo
	s_wait_loadcnt 0x1
	v_and_b32_e32 v18, s14, v18
	v_and_b32_e32 v19, s15, v19
	s_delay_alu instid0(VALU_DEP_1) | instskip(SKIP_1) | instid1(VALU_DEP_1)
	v_mul_u64_e32 v[6:7], 24, v[18:19]
	s_wait_loadcnt 0x0
	v_add_nc_u64_e32 v[6:7], v[20:21], v[6:7]
	s_wait_xcnt 0x0
	s_and_saveexec_b32 s16, s2
	s_cbranch_execz .LBB5_490
; %bb.489:                              ;   in Loop: Header=BB5_3 Depth=1
	v_mov_b32_e32 v0, s3
	global_store_b128 v[6:7], v[0:3], off offset:8
.LBB5_490:                              ;   in Loop: Header=BB5_3 Depth=1
	s_wait_xcnt 0x0
	s_or_b32 exec_lo, exec_lo, s16
	v_lshlrev_b64_e32 v[18:19], 12, v[18:19]
	v_mov_b64_e32 v[26:27], s[6:7]
	v_mov_b64_e32 v[24:25], s[4:5]
	v_and_or_b32 v16, 0xffffff1f, v16, 32
	s_delay_alu instid0(VALU_DEP_4) | instskip(SKIP_1) | instid1(VALU_DEP_2)
	v_add_nc_u64_e32 v[22:23], v[22:23], v[18:19]
	v_dual_mov_b32 v18, v1 :: v_dual_mov_b32 v19, v1
	v_readfirstlane_b32 s16, v22
	s_delay_alu instid0(VALU_DEP_3)
	v_readfirstlane_b32 s17, v23
	s_clause 0x3
	global_store_b128 v46, v[16:19], s[16:17]
	global_store_b128 v46, v[24:27], s[16:17] offset:16
	global_store_b128 v46, v[24:27], s[16:17] offset:32
	;; [unrolled: 1-line block ×3, first 2 shown]
	s_wait_xcnt 0x0
	s_and_saveexec_b32 s3, s2
	s_cbranch_execz .LBB5_498
; %bb.491:                              ;   in Loop: Header=BB5_3 Depth=1
	s_clause 0x1
	global_load_b64 v[26:27], v1, s[12:13] offset:32 scope:SCOPE_SYS
	global_load_b64 v[16:17], v1, s[12:13] offset:40
	s_mov_b32 s16, exec_lo
	v_dual_mov_b32 v24, s14 :: v_dual_mov_b32 v25, s15
	s_wait_loadcnt 0x0
	v_and_b32_e32 v17, s15, v17
	v_and_b32_e32 v16, s14, v16
	s_delay_alu instid0(VALU_DEP_1) | instskip(NEXT) | instid1(VALU_DEP_1)
	v_mul_u64_e32 v[16:17], 24, v[16:17]
	v_add_nc_u64_e32 v[20:21], v[20:21], v[16:17]
	global_store_b64 v[20:21], v[26:27], off
	global_wb scope:SCOPE_SYS
	s_wait_storecnt 0x0
	s_wait_xcnt 0x0
	global_atomic_cmpswap_b64 v[18:19], v1, v[24:27], s[12:13] offset:32 th:TH_ATOMIC_RETURN scope:SCOPE_SYS
	s_wait_loadcnt 0x0
	s_wait_xcnt 0x0
	v_cmpx_ne_u64_e64 v[18:19], v[26:27]
	s_cbranch_execz .LBB5_494
; %bb.492:                              ;   in Loop: Header=BB5_3 Depth=1
	s_mov_b32 s17, 0
.LBB5_493:                              ;   Parent Loop BB5_3 Depth=1
                                        ; =>  This Inner Loop Header: Depth=2
	v_dual_mov_b32 v16, s14 :: v_dual_mov_b32 v17, s15
	s_sleep 1
	global_store_b64 v[20:21], v[18:19], off
	global_wb scope:SCOPE_SYS
	s_wait_storecnt 0x0
	s_wait_xcnt 0x0
	global_atomic_cmpswap_b64 v[16:17], v1, v[16:19], s[12:13] offset:32 th:TH_ATOMIC_RETURN scope:SCOPE_SYS
	s_wait_loadcnt 0x0
	v_cmp_eq_u64_e32 vcc_lo, v[16:17], v[18:19]
	s_wait_xcnt 0x0
	v_mov_b64_e32 v[18:19], v[16:17]
	s_or_b32 s17, vcc_lo, s17
	s_delay_alu instid0(SALU_CYCLE_1)
	s_and_not1_b32 exec_lo, exec_lo, s17
	s_cbranch_execnz .LBB5_493
.LBB5_494:                              ;   in Loop: Header=BB5_3 Depth=1
	s_or_b32 exec_lo, exec_lo, s16
	global_load_b64 v[16:17], v1, s[12:13] offset:16
	s_mov_b32 s17, exec_lo
	s_mov_b32 s16, exec_lo
	v_mbcnt_lo_u32_b32 v0, s17, 0
	s_wait_xcnt 0x0
	s_delay_alu instid0(VALU_DEP_1)
	v_cmpx_eq_u32_e32 0, v0
	s_cbranch_execz .LBB5_496
; %bb.495:                              ;   in Loop: Header=BB5_3 Depth=1
	s_bcnt1_i32_b32 s17, s17
	s_delay_alu instid0(SALU_CYCLE_1)
	v_mov_b32_e32 v0, s17
	global_wb scope:SCOPE_SYS
	s_wait_loadcnt 0x0
	s_wait_storecnt 0x0
	global_atomic_add_u64 v[16:17], v[0:1], off offset:8 scope:SCOPE_SYS
.LBB5_496:                              ;   in Loop: Header=BB5_3 Depth=1
	s_wait_xcnt 0x0
	s_or_b32 exec_lo, exec_lo, s16
	s_wait_loadcnt 0x0
	global_load_b64 v[18:19], v[16:17], off offset:16
	s_wait_loadcnt 0x0
	v_cmp_eq_u64_e32 vcc_lo, 0, v[18:19]
	s_cbranch_vccnz .LBB5_498
; %bb.497:                              ;   in Loop: Header=BB5_3 Depth=1
	global_load_b32 v0, v[16:17], off offset:24
	s_wait_loadcnt 0x0
	v_readfirstlane_b32 s16, v0
	global_wb scope:SCOPE_SYS
	s_wait_storecnt 0x0
	s_wait_xcnt 0x0
	global_store_b64 v[18:19], v[0:1], off scope:SCOPE_SYS
	s_and_b32 m0, s16, 0xffffff
	s_sendmsg sendmsg(MSG_INTERRUPT)
.LBB5_498:                              ;   in Loop: Header=BB5_3 Depth=1
	s_wait_xcnt 0x0
	s_or_b32 exec_lo, exec_lo, s3
	v_mov_b32_e32 v47, v1
	s_delay_alu instid0(VALU_DEP_1)
	v_add_nc_u64_e32 v[16:17], v[22:23], v[46:47]
	s_branch .LBB5_502
.LBB5_499:                              ;   in Loop: Header=BB5_502 Depth=2
	s_wait_xcnt 0x0
	s_or_b32 exec_lo, exec_lo, s3
	s_delay_alu instid0(VALU_DEP_1)
	v_readfirstlane_b32 s3, v0
	s_cmp_eq_u32 s3, 0
	s_cbranch_scc1 .LBB5_501
; %bb.500:                              ;   in Loop: Header=BB5_502 Depth=2
	s_sleep 1
	s_cbranch_execnz .LBB5_502
	s_branch .LBB5_504
.LBB5_501:                              ;   in Loop: Header=BB5_3 Depth=1
	s_branch .LBB5_504
.LBB5_502:                              ;   Parent Loop BB5_3 Depth=1
                                        ; =>  This Inner Loop Header: Depth=2
	v_mov_b32_e32 v0, 1
	s_and_saveexec_b32 s3, s2
	s_cbranch_execz .LBB5_499
; %bb.503:                              ;   in Loop: Header=BB5_502 Depth=2
	global_load_b32 v0, v[6:7], off offset:20 scope:SCOPE_SYS
	s_wait_loadcnt 0x0
	global_inv scope:SCOPE_SYS
	v_and_b32_e32 v0, 1, v0
	s_branch .LBB5_499
.LBB5_504:                              ;   in Loop: Header=BB5_3 Depth=1
	global_load_b64 v[18:19], v[16:17], off
	s_wait_xcnt 0x0
	s_and_saveexec_b32 s16, s2
	s_cbranch_execz .LBB5_508
; %bb.505:                              ;   in Loop: Header=BB5_3 Depth=1
	s_clause 0x2
	global_load_b64 v[6:7], v1, s[12:13] offset:40
	global_load_b64 v[24:25], v1, s[12:13] offset:24 scope:SCOPE_SYS
	global_load_b64 v[16:17], v1, s[12:13]
	s_wait_loadcnt 0x2
	v_readfirstlane_b32 s18, v6
	v_readfirstlane_b32 s19, v7
	s_add_nc_u64 s[2:3], s[18:19], 1
	s_delay_alu instid0(SALU_CYCLE_1) | instskip(NEXT) | instid1(SALU_CYCLE_1)
	s_add_nc_u64 s[14:15], s[2:3], s[14:15]
	s_cmp_eq_u64 s[14:15], 0
	s_cselect_b32 s3, s3, s15
	s_cselect_b32 s2, s2, s14
	s_delay_alu instid0(SALU_CYCLE_1) | instskip(SKIP_1) | instid1(SALU_CYCLE_1)
	v_dual_mov_b32 v23, s3 :: v_dual_mov_b32 v22, s2
	s_and_b64 s[14:15], s[2:3], s[18:19]
	s_mul_u64 s[14:15], s[14:15], 24
	s_wait_loadcnt 0x0
	v_add_nc_u64_e32 v[6:7], s[14:15], v[16:17]
	global_store_b64 v[6:7], v[24:25], off
	global_wb scope:SCOPE_SYS
	s_wait_storecnt 0x0
	s_wait_xcnt 0x0
	global_atomic_cmpswap_b64 v[22:23], v1, v[22:25], s[12:13] offset:24 th:TH_ATOMIC_RETURN scope:SCOPE_SYS
	s_wait_loadcnt 0x0
	v_cmp_ne_u64_e32 vcc_lo, v[22:23], v[24:25]
	s_wait_xcnt 0x0
	s_and_b32 exec_lo, exec_lo, vcc_lo
	s_cbranch_execz .LBB5_508
; %bb.506:                              ;   in Loop: Header=BB5_3 Depth=1
	s_mov_b32 s14, 0
.LBB5_507:                              ;   Parent Loop BB5_3 Depth=1
                                        ; =>  This Inner Loop Header: Depth=2
	v_dual_mov_b32 v20, s2 :: v_dual_mov_b32 v21, s3
	s_sleep 1
	global_store_b64 v[6:7], v[22:23], off
	global_wb scope:SCOPE_SYS
	s_wait_storecnt 0x0
	s_wait_xcnt 0x0
	global_atomic_cmpswap_b64 v[16:17], v1, v[20:23], s[12:13] offset:24 th:TH_ATOMIC_RETURN scope:SCOPE_SYS
	s_wait_loadcnt 0x0
	v_cmp_eq_u64_e32 vcc_lo, v[16:17], v[22:23]
	s_wait_xcnt 0x0
	v_mov_b64_e32 v[22:23], v[16:17]
	s_or_b32 s14, vcc_lo, s14
	s_delay_alu instid0(SALU_CYCLE_1)
	s_and_not1_b32 exec_lo, exec_lo, s14
	s_cbranch_execnz .LBB5_507
.LBB5_508:                              ;   in Loop: Header=BB5_3 Depth=1
	s_or_b32 exec_lo, exec_lo, s16
.LBB5_509:                              ;   in Loop: Header=BB5_3 Depth=1
	v_readfirstlane_b32 s2, v38
	v_mov_b64_e32 v[6:7], 0
	s_delay_alu instid0(VALU_DEP_2)
	v_cmp_eq_u32_e64 s2, s2, v38
	s_and_saveexec_b32 s3, s2
	s_cbranch_execz .LBB5_515
; %bb.510:                              ;   in Loop: Header=BB5_3 Depth=1
	global_load_b64 v[22:23], v1, s[12:13] offset:24 scope:SCOPE_SYS
	s_wait_loadcnt 0x0
	global_inv scope:SCOPE_SYS
	s_clause 0x1
	global_load_b64 v[6:7], v1, s[12:13] offset:40
	global_load_b64 v[16:17], v1, s[12:13]
	s_mov_b32 s14, exec_lo
	s_wait_loadcnt 0x1
	v_and_b32_e32 v6, v6, v22
	v_and_b32_e32 v7, v7, v23
	s_delay_alu instid0(VALU_DEP_1) | instskip(SKIP_1) | instid1(VALU_DEP_1)
	v_mul_u64_e32 v[6:7], 24, v[6:7]
	s_wait_loadcnt 0x0
	v_add_nc_u64_e32 v[6:7], v[16:17], v[6:7]
	global_load_b64 v[20:21], v[6:7], off scope:SCOPE_SYS
	s_wait_xcnt 0x0
	s_wait_loadcnt 0x0
	global_atomic_cmpswap_b64 v[6:7], v1, v[20:23], s[12:13] offset:24 th:TH_ATOMIC_RETURN scope:SCOPE_SYS
	s_wait_loadcnt 0x0
	global_inv scope:SCOPE_SYS
	s_wait_xcnt 0x0
	v_cmpx_ne_u64_e64 v[6:7], v[22:23]
	s_cbranch_execz .LBB5_514
; %bb.511:                              ;   in Loop: Header=BB5_3 Depth=1
	s_mov_b32 s15, 0
.LBB5_512:                              ;   Parent Loop BB5_3 Depth=1
                                        ; =>  This Inner Loop Header: Depth=2
	s_sleep 1
	s_clause 0x1
	global_load_b64 v[16:17], v1, s[12:13] offset:40
	global_load_b64 v[20:21], v1, s[12:13]
	v_mov_b64_e32 v[22:23], v[6:7]
	s_wait_loadcnt 0x1
	s_delay_alu instid0(VALU_DEP_1) | instskip(SKIP_1) | instid1(VALU_DEP_1)
	v_and_b32_e32 v0, v16, v22
	s_wait_loadcnt 0x0
	v_mad_nc_u64_u32 v[6:7], v0, 24, v[20:21]
	s_delay_alu instid0(VALU_DEP_3) | instskip(NEXT) | instid1(VALU_DEP_1)
	v_and_b32_e32 v0, v17, v23
	v_mad_u32 v7, v0, 24, v7
	global_load_b64 v[20:21], v[6:7], off scope:SCOPE_SYS
	s_wait_xcnt 0x0
	s_wait_loadcnt 0x0
	global_atomic_cmpswap_b64 v[6:7], v1, v[20:23], s[12:13] offset:24 th:TH_ATOMIC_RETURN scope:SCOPE_SYS
	s_wait_loadcnt 0x0
	global_inv scope:SCOPE_SYS
	v_cmp_eq_u64_e32 vcc_lo, v[6:7], v[22:23]
	s_or_b32 s15, vcc_lo, s15
	s_wait_xcnt 0x0
	s_and_not1_b32 exec_lo, exec_lo, s15
	s_cbranch_execnz .LBB5_512
; %bb.513:                              ;   in Loop: Header=BB5_3 Depth=1
	s_or_b32 exec_lo, exec_lo, s15
.LBB5_514:                              ;   in Loop: Header=BB5_3 Depth=1
	s_delay_alu instid0(SALU_CYCLE_1)
	s_or_b32 exec_lo, exec_lo, s14
.LBB5_515:                              ;   in Loop: Header=BB5_3 Depth=1
	s_delay_alu instid0(SALU_CYCLE_1)
	s_or_b32 exec_lo, exec_lo, s3
	s_wait_loadcnt 0x0
	s_clause 0x1
	global_load_b64 v[16:17], v1, s[12:13] offset:40
	global_load_b128 v[22:25], v1, s[12:13]
	v_readfirstlane_b32 s14, v6
	v_readfirstlane_b32 s15, v7
	s_mov_b32 s3, exec_lo
	s_wait_loadcnt 0x1
	v_and_b32_e32 v16, s14, v16
	v_and_b32_e32 v17, s15, v17
	s_delay_alu instid0(VALU_DEP_1) | instskip(SKIP_1) | instid1(VALU_DEP_1)
	v_mul_u64_e32 v[6:7], 24, v[16:17]
	s_wait_loadcnt 0x0
	v_add_nc_u64_e32 v[6:7], v[22:23], v[6:7]
	s_wait_xcnt 0x0
	s_and_saveexec_b32 s16, s2
	s_cbranch_execz .LBB5_517
; %bb.516:                              ;   in Loop: Header=BB5_3 Depth=1
	v_mov_b32_e32 v0, s3
	global_store_b128 v[6:7], v[0:3], off offset:8
.LBB5_517:                              ;   in Loop: Header=BB5_3 Depth=1
	s_wait_xcnt 0x0
	s_or_b32 exec_lo, exec_lo, s16
	v_lshlrev_b64_e32 v[16:17], 12, v[16:17]
	v_mov_b64_e32 v[28:29], s[6:7]
	v_mov_b64_e32 v[26:27], s[4:5]
	v_and_or_b32 v18, 0xffffff1d, v18, 34
	v_dual_mov_b32 v20, v51 :: v_dual_mov_b32 v21, v1
	v_add_nc_u64_e32 v[24:25], v[24:25], v[16:17]
	s_delay_alu instid0(VALU_DEP_1) | instskip(NEXT) | instid1(VALU_DEP_2)
	v_readfirstlane_b32 s16, v24
	v_readfirstlane_b32 s17, v25
	s_clause 0x3
	global_store_b128 v46, v[18:21], s[16:17]
	global_store_b128 v46, v[26:29], s[16:17] offset:16
	global_store_b128 v46, v[26:29], s[16:17] offset:32
	;; [unrolled: 1-line block ×3, first 2 shown]
	s_wait_xcnt 0x0
	s_and_saveexec_b32 s3, s2
	s_cbranch_execz .LBB5_525
; %bb.518:                              ;   in Loop: Header=BB5_3 Depth=1
	s_clause 0x1
	global_load_b64 v[28:29], v1, s[12:13] offset:32 scope:SCOPE_SYS
	global_load_b64 v[16:17], v1, s[12:13] offset:40
	s_mov_b32 s16, exec_lo
	v_dual_mov_b32 v26, s14 :: v_dual_mov_b32 v27, s15
	s_wait_loadcnt 0x0
	v_and_b32_e32 v17, s15, v17
	v_and_b32_e32 v16, s14, v16
	s_delay_alu instid0(VALU_DEP_1) | instskip(NEXT) | instid1(VALU_DEP_1)
	v_mul_u64_e32 v[16:17], 24, v[16:17]
	v_add_nc_u64_e32 v[20:21], v[22:23], v[16:17]
	global_store_b64 v[20:21], v[28:29], off
	global_wb scope:SCOPE_SYS
	s_wait_storecnt 0x0
	s_wait_xcnt 0x0
	global_atomic_cmpswap_b64 v[18:19], v1, v[26:29], s[12:13] offset:32 th:TH_ATOMIC_RETURN scope:SCOPE_SYS
	s_wait_loadcnt 0x0
	s_wait_xcnt 0x0
	v_cmpx_ne_u64_e64 v[18:19], v[28:29]
	s_cbranch_execz .LBB5_521
; %bb.519:                              ;   in Loop: Header=BB5_3 Depth=1
	s_mov_b32 s17, 0
.LBB5_520:                              ;   Parent Loop BB5_3 Depth=1
                                        ; =>  This Inner Loop Header: Depth=2
	v_dual_mov_b32 v16, s14 :: v_dual_mov_b32 v17, s15
	s_sleep 1
	global_store_b64 v[20:21], v[18:19], off
	global_wb scope:SCOPE_SYS
	s_wait_storecnt 0x0
	s_wait_xcnt 0x0
	global_atomic_cmpswap_b64 v[16:17], v1, v[16:19], s[12:13] offset:32 th:TH_ATOMIC_RETURN scope:SCOPE_SYS
	s_wait_loadcnt 0x0
	v_cmp_eq_u64_e32 vcc_lo, v[16:17], v[18:19]
	s_wait_xcnt 0x0
	v_mov_b64_e32 v[18:19], v[16:17]
	s_or_b32 s17, vcc_lo, s17
	s_delay_alu instid0(SALU_CYCLE_1)
	s_and_not1_b32 exec_lo, exec_lo, s17
	s_cbranch_execnz .LBB5_520
.LBB5_521:                              ;   in Loop: Header=BB5_3 Depth=1
	s_or_b32 exec_lo, exec_lo, s16
	global_load_b64 v[16:17], v1, s[12:13] offset:16
	s_mov_b32 s17, exec_lo
	s_mov_b32 s16, exec_lo
	v_mbcnt_lo_u32_b32 v0, s17, 0
	s_wait_xcnt 0x0
	s_delay_alu instid0(VALU_DEP_1)
	v_cmpx_eq_u32_e32 0, v0
	s_cbranch_execz .LBB5_523
; %bb.522:                              ;   in Loop: Header=BB5_3 Depth=1
	s_bcnt1_i32_b32 s17, s17
	s_delay_alu instid0(SALU_CYCLE_1)
	v_mov_b32_e32 v0, s17
	global_wb scope:SCOPE_SYS
	s_wait_loadcnt 0x0
	s_wait_storecnt 0x0
	global_atomic_add_u64 v[16:17], v[0:1], off offset:8 scope:SCOPE_SYS
.LBB5_523:                              ;   in Loop: Header=BB5_3 Depth=1
	s_wait_xcnt 0x0
	s_or_b32 exec_lo, exec_lo, s16
	s_wait_loadcnt 0x0
	global_load_b64 v[18:19], v[16:17], off offset:16
	s_wait_loadcnt 0x0
	v_cmp_eq_u64_e32 vcc_lo, 0, v[18:19]
	s_cbranch_vccnz .LBB5_525
; %bb.524:                              ;   in Loop: Header=BB5_3 Depth=1
	global_load_b32 v0, v[16:17], off offset:24
	s_wait_loadcnt 0x0
	v_readfirstlane_b32 s16, v0
	global_wb scope:SCOPE_SYS
	s_wait_storecnt 0x0
	s_wait_xcnt 0x0
	global_store_b64 v[18:19], v[0:1], off scope:SCOPE_SYS
	s_and_b32 m0, s16, 0xffffff
	s_sendmsg sendmsg(MSG_INTERRUPT)
.LBB5_525:                              ;   in Loop: Header=BB5_3 Depth=1
	s_wait_xcnt 0x0
	s_or_b32 exec_lo, exec_lo, s3
	v_mov_b32_e32 v47, v1
	s_delay_alu instid0(VALU_DEP_1)
	v_add_nc_u64_e32 v[16:17], v[24:25], v[46:47]
	s_branch .LBB5_529
.LBB5_526:                              ;   in Loop: Header=BB5_529 Depth=2
	s_wait_xcnt 0x0
	s_or_b32 exec_lo, exec_lo, s3
	s_delay_alu instid0(VALU_DEP_1)
	v_readfirstlane_b32 s3, v0
	s_cmp_eq_u32 s3, 0
	s_cbranch_scc1 .LBB5_528
; %bb.527:                              ;   in Loop: Header=BB5_529 Depth=2
	s_sleep 1
	s_cbranch_execnz .LBB5_529
	s_branch .LBB5_531
.LBB5_528:                              ;   in Loop: Header=BB5_3 Depth=1
	s_branch .LBB5_531
.LBB5_529:                              ;   Parent Loop BB5_3 Depth=1
                                        ; =>  This Inner Loop Header: Depth=2
	v_mov_b32_e32 v0, 1
	s_and_saveexec_b32 s3, s2
	s_cbranch_execz .LBB5_526
; %bb.530:                              ;   in Loop: Header=BB5_529 Depth=2
	global_load_b32 v0, v[6:7], off offset:20 scope:SCOPE_SYS
	s_wait_loadcnt 0x0
	global_inv scope:SCOPE_SYS
	v_and_b32_e32 v0, 1, v0
	s_branch .LBB5_526
.LBB5_531:                              ;   in Loop: Header=BB5_3 Depth=1
	global_load_b64 v[52:53], v[16:17], off
	s_wait_xcnt 0x0
	s_and_saveexec_b32 s16, s2
	s_cbranch_execz .LBB5_535
; %bb.532:                              ;   in Loop: Header=BB5_3 Depth=1
	s_clause 0x2
	global_load_b64 v[6:7], v1, s[12:13] offset:40
	global_load_b64 v[20:21], v1, s[12:13] offset:24 scope:SCOPE_SYS
	global_load_b64 v[16:17], v1, s[12:13]
	s_wait_loadcnt 0x2
	v_readfirstlane_b32 s18, v6
	v_readfirstlane_b32 s19, v7
	s_add_nc_u64 s[2:3], s[18:19], 1
	s_delay_alu instid0(SALU_CYCLE_1) | instskip(NEXT) | instid1(SALU_CYCLE_1)
	s_add_nc_u64 s[14:15], s[2:3], s[14:15]
	s_cmp_eq_u64 s[14:15], 0
	s_cselect_b32 s3, s3, s15
	s_cselect_b32 s2, s2, s14
	s_delay_alu instid0(SALU_CYCLE_1) | instskip(SKIP_1) | instid1(SALU_CYCLE_1)
	v_dual_mov_b32 v19, s3 :: v_dual_mov_b32 v18, s2
	s_and_b64 s[14:15], s[2:3], s[18:19]
	s_mul_u64 s[14:15], s[14:15], 24
	s_wait_loadcnt 0x0
	v_add_nc_u64_e32 v[6:7], s[14:15], v[16:17]
	global_store_b64 v[6:7], v[20:21], off
	global_wb scope:SCOPE_SYS
	s_wait_storecnt 0x0
	s_wait_xcnt 0x0
	global_atomic_cmpswap_b64 v[18:19], v1, v[18:21], s[12:13] offset:24 th:TH_ATOMIC_RETURN scope:SCOPE_SYS
	s_wait_loadcnt 0x0
	v_cmp_ne_u64_e32 vcc_lo, v[18:19], v[20:21]
	s_wait_xcnt 0x0
	s_and_b32 exec_lo, exec_lo, vcc_lo
	s_cbranch_execz .LBB5_535
; %bb.533:                              ;   in Loop: Header=BB5_3 Depth=1
	s_mov_b32 s14, 0
.LBB5_534:                              ;   Parent Loop BB5_3 Depth=1
                                        ; =>  This Inner Loop Header: Depth=2
	v_dual_mov_b32 v16, s2 :: v_dual_mov_b32 v17, s3
	s_sleep 1
	global_store_b64 v[6:7], v[18:19], off
	global_wb scope:SCOPE_SYS
	s_wait_storecnt 0x0
	s_wait_xcnt 0x0
	global_atomic_cmpswap_b64 v[16:17], v1, v[16:19], s[12:13] offset:24 th:TH_ATOMIC_RETURN scope:SCOPE_SYS
	s_wait_loadcnt 0x0
	v_cmp_eq_u64_e32 vcc_lo, v[16:17], v[18:19]
	s_wait_xcnt 0x0
	v_mov_b64_e32 v[18:19], v[16:17]
	s_or_b32 s14, vcc_lo, s14
	s_delay_alu instid0(SALU_CYCLE_1)
	s_and_not1_b32 exec_lo, exec_lo, s14
	s_cbranch_execnz .LBB5_534
.LBB5_535:                              ;   in Loop: Header=BB5_3 Depth=1
	s_or_b32 exec_lo, exec_lo, s16
	scratch_load_b32 v0, off, off offset:4
	s_sub_co_i32 s2, 0, s27
	v_mov_b64_e32 v[6:7], 0
	v_mov_b32_e32 v5, s2
	v_readfirstlane_b32 s2, v38
	s_delay_alu instid0(VALU_DEP_1)
	v_cmp_eq_u32_e64 s2, s2, v38
	s_wait_loadcnt 0x0
	scratch_store_b32 off, v0, off offset:8
	s_wait_xcnt 0x0
	flat_atomic_add_u32 v[44:45], v5 scope:SCOPE_DEV
	scratch_load_b32 v51, off, off offset:8
	s_wait_xcnt 0x0
	s_and_saveexec_b32 s3, s2
	s_cbranch_execz .LBB5_541
; %bb.536:                              ;   in Loop: Header=BB5_3 Depth=1
	global_load_b64 v[18:19], v1, s[12:13] offset:24 scope:SCOPE_SYS
	s_wait_loadcnt 0x0
	global_inv scope:SCOPE_SYS
	s_clause 0x1
	global_load_b64 v[6:7], v1, s[12:13] offset:40
	global_load_b64 v[16:17], v1, s[12:13]
	s_mov_b32 s14, exec_lo
	s_wait_loadcnt 0x1
	v_and_b32_e32 v6, v6, v18
	v_and_b32_e32 v7, v7, v19
	s_delay_alu instid0(VALU_DEP_1) | instskip(SKIP_1) | instid1(VALU_DEP_1)
	v_mul_u64_e32 v[6:7], 24, v[6:7]
	s_wait_loadcnt 0x0
	v_add_nc_u64_e32 v[6:7], v[16:17], v[6:7]
	global_load_b64 v[16:17], v[6:7], off scope:SCOPE_SYS
	s_wait_xcnt 0x0
	s_wait_loadcnt 0x0
	global_atomic_cmpswap_b64 v[6:7], v1, v[16:19], s[12:13] offset:24 th:TH_ATOMIC_RETURN scope:SCOPE_SYS
	s_wait_loadcnt 0x0
	global_inv scope:SCOPE_SYS
	s_wait_xcnt 0x0
	v_cmpx_ne_u64_e64 v[6:7], v[18:19]
	s_cbranch_execz .LBB5_540
; %bb.537:                              ;   in Loop: Header=BB5_3 Depth=1
	s_mov_b32 s15, 0
.LBB5_538:                              ;   Parent Loop BB5_3 Depth=1
                                        ; =>  This Inner Loop Header: Depth=2
	s_sleep 1
	s_clause 0x1
	global_load_b64 v[16:17], v1, s[12:13] offset:40
	global_load_b64 v[20:21], v1, s[12:13]
	v_mov_b64_e32 v[18:19], v[6:7]
	s_wait_loadcnt 0x1
	s_delay_alu instid0(VALU_DEP_1) | instskip(SKIP_1) | instid1(VALU_DEP_1)
	v_and_b32_e32 v0, v16, v18
	s_wait_loadcnt 0x0
	v_mad_nc_u64_u32 v[6:7], v0, 24, v[20:21]
	s_delay_alu instid0(VALU_DEP_3) | instskip(NEXT) | instid1(VALU_DEP_1)
	v_and_b32_e32 v0, v17, v19
	v_mad_u32 v7, v0, 24, v7
	global_load_b64 v[16:17], v[6:7], off scope:SCOPE_SYS
	s_wait_xcnt 0x0
	s_wait_loadcnt 0x0
	global_atomic_cmpswap_b64 v[6:7], v1, v[16:19], s[12:13] offset:24 th:TH_ATOMIC_RETURN scope:SCOPE_SYS
	s_wait_loadcnt 0x0
	global_inv scope:SCOPE_SYS
	v_cmp_eq_u64_e32 vcc_lo, v[6:7], v[18:19]
	s_or_b32 s15, vcc_lo, s15
	s_wait_xcnt 0x0
	s_and_not1_b32 exec_lo, exec_lo, s15
	s_cbranch_execnz .LBB5_538
; %bb.539:                              ;   in Loop: Header=BB5_3 Depth=1
	s_or_b32 exec_lo, exec_lo, s15
.LBB5_540:                              ;   in Loop: Header=BB5_3 Depth=1
	s_delay_alu instid0(SALU_CYCLE_1)
	s_or_b32 exec_lo, exec_lo, s14
.LBB5_541:                              ;   in Loop: Header=BB5_3 Depth=1
	s_delay_alu instid0(SALU_CYCLE_1)
	s_or_b32 exec_lo, exec_lo, s3
	s_clause 0x1
	global_load_b64 v[20:21], v1, s[12:13] offset:40
	global_load_b128 v[16:19], v1, s[12:13]
	v_readfirstlane_b32 s14, v6
	v_readfirstlane_b32 s15, v7
	s_mov_b32 s3, exec_lo
	s_wait_loadcnt 0x1
	v_and_b32_e32 v6, s14, v20
	v_and_b32_e32 v7, s15, v21
	s_delay_alu instid0(VALU_DEP_1) | instskip(SKIP_1) | instid1(VALU_DEP_1)
	v_mul_u64_e32 v[20:21], 24, v[6:7]
	s_wait_loadcnt 0x0
	v_add_nc_u64_e32 v[20:21], v[16:17], v[20:21]
	s_wait_xcnt 0x0
	s_and_saveexec_b32 s16, s2
	s_cbranch_execz .LBB5_543
; %bb.542:                              ;   in Loop: Header=BB5_3 Depth=1
	v_mov_b32_e32 v0, s3
	global_store_b128 v[20:21], v[0:3], off offset:8
.LBB5_543:                              ;   in Loop: Header=BB5_3 Depth=1
	s_wait_xcnt 0x0
	s_or_b32 exec_lo, exec_lo, s16
	v_lshlrev_b64_e32 v[6:7], 12, v[6:7]
	v_mov_b64_e32 v[26:27], s[6:7]
	v_mov_b64_e32 v[24:25], s[4:5]
	v_mov_b32_e32 v5, v1
	s_delay_alu instid0(VALU_DEP_4) | instskip(SKIP_1) | instid1(VALU_DEP_2)
	v_add_nc_u64_e32 v[22:23], v[18:19], v[6:7]
	v_dual_mov_b32 v6, v1 :: v_dual_mov_b32 v7, v1
	v_readfirstlane_b32 s16, v22
	s_delay_alu instid0(VALU_DEP_3)
	v_readfirstlane_b32 s17, v23
	s_clause 0x3
	global_store_b128 v46, v[4:7], s[16:17]
	global_store_b128 v46, v[24:27], s[16:17] offset:16
	global_store_b128 v46, v[24:27], s[16:17] offset:32
	;; [unrolled: 1-line block ×3, first 2 shown]
	s_wait_xcnt 0x0
	s_and_saveexec_b32 s3, s2
	s_cbranch_execz .LBB5_551
; %bb.544:                              ;   in Loop: Header=BB5_3 Depth=1
	s_clause 0x1
	global_load_b64 v[26:27], v1, s[12:13] offset:32 scope:SCOPE_SYS
	global_load_b64 v[6:7], v1, s[12:13] offset:40
	s_mov_b32 s16, exec_lo
	v_dual_mov_b32 v24, s14 :: v_dual_mov_b32 v25, s15
	s_wait_loadcnt 0x0
	v_and_b32_e32 v7, s15, v7
	v_and_b32_e32 v6, s14, v6
	s_delay_alu instid0(VALU_DEP_1) | instskip(NEXT) | instid1(VALU_DEP_1)
	v_mul_u64_e32 v[6:7], 24, v[6:7]
	v_add_nc_u64_e32 v[6:7], v[16:17], v[6:7]
	global_store_b64 v[6:7], v[26:27], off
	global_wb scope:SCOPE_SYS
	s_wait_storecnt 0x0
	s_wait_xcnt 0x0
	global_atomic_cmpswap_b64 v[18:19], v1, v[24:27], s[12:13] offset:32 th:TH_ATOMIC_RETURN scope:SCOPE_SYS
	s_wait_loadcnt 0x0
	s_wait_xcnt 0x0
	v_cmpx_ne_u64_e64 v[18:19], v[26:27]
	s_cbranch_execz .LBB5_547
; %bb.545:                              ;   in Loop: Header=BB5_3 Depth=1
	s_mov_b32 s17, 0
.LBB5_546:                              ;   Parent Loop BB5_3 Depth=1
                                        ; =>  This Inner Loop Header: Depth=2
	v_dual_mov_b32 v16, s14 :: v_dual_mov_b32 v17, s15
	s_sleep 1
	global_store_b64 v[6:7], v[18:19], off
	global_wb scope:SCOPE_SYS
	s_wait_storecnt 0x0
	s_wait_xcnt 0x0
	global_atomic_cmpswap_b64 v[16:17], v1, v[16:19], s[12:13] offset:32 th:TH_ATOMIC_RETURN scope:SCOPE_SYS
	s_wait_loadcnt 0x0
	v_cmp_eq_u64_e32 vcc_lo, v[16:17], v[18:19]
	s_wait_xcnt 0x0
	v_mov_b64_e32 v[18:19], v[16:17]
	s_or_b32 s17, vcc_lo, s17
	s_delay_alu instid0(SALU_CYCLE_1)
	s_and_not1_b32 exec_lo, exec_lo, s17
	s_cbranch_execnz .LBB5_546
.LBB5_547:                              ;   in Loop: Header=BB5_3 Depth=1
	s_or_b32 exec_lo, exec_lo, s16
	global_load_b64 v[6:7], v1, s[12:13] offset:16
	s_mov_b32 s17, exec_lo
	s_mov_b32 s16, exec_lo
	v_mbcnt_lo_u32_b32 v0, s17, 0
	s_wait_xcnt 0x0
	s_delay_alu instid0(VALU_DEP_1)
	v_cmpx_eq_u32_e32 0, v0
	s_cbranch_execz .LBB5_549
; %bb.548:                              ;   in Loop: Header=BB5_3 Depth=1
	s_bcnt1_i32_b32 s17, s17
	s_delay_alu instid0(SALU_CYCLE_1)
	v_mov_b32_e32 v0, s17
	global_wb scope:SCOPE_SYS
	s_wait_loadcnt 0x0
	s_wait_storecnt 0x0
	global_atomic_add_u64 v[6:7], v[0:1], off offset:8 scope:SCOPE_SYS
.LBB5_549:                              ;   in Loop: Header=BB5_3 Depth=1
	s_wait_xcnt 0x0
	s_or_b32 exec_lo, exec_lo, s16
	s_wait_loadcnt 0x0
	global_load_b64 v[16:17], v[6:7], off offset:16
	s_wait_loadcnt 0x0
	v_cmp_eq_u64_e32 vcc_lo, 0, v[16:17]
	s_cbranch_vccnz .LBB5_551
; %bb.550:                              ;   in Loop: Header=BB5_3 Depth=1
	global_load_b32 v0, v[6:7], off offset:24
	s_wait_loadcnt 0x0
	v_readfirstlane_b32 s16, v0
	global_wb scope:SCOPE_SYS
	s_wait_storecnt 0x0
	s_wait_xcnt 0x0
	global_store_b64 v[16:17], v[0:1], off scope:SCOPE_SYS
	s_and_b32 m0, s16, 0xffffff
	s_sendmsg sendmsg(MSG_INTERRUPT)
.LBB5_551:                              ;   in Loop: Header=BB5_3 Depth=1
	s_wait_xcnt 0x0
	s_or_b32 exec_lo, exec_lo, s3
	v_mov_b32_e32 v47, v1
	s_delay_alu instid0(VALU_DEP_1)
	v_add_nc_u64_e32 v[6:7], v[22:23], v[46:47]
	s_branch .LBB5_555
.LBB5_552:                              ;   in Loop: Header=BB5_555 Depth=2
	s_wait_xcnt 0x0
	s_or_b32 exec_lo, exec_lo, s3
	s_delay_alu instid0(VALU_DEP_1)
	v_readfirstlane_b32 s3, v0
	s_cmp_eq_u32 s3, 0
	s_cbranch_scc1 .LBB5_554
; %bb.553:                              ;   in Loop: Header=BB5_555 Depth=2
	s_sleep 1
	s_cbranch_execnz .LBB5_555
	s_branch .LBB5_557
.LBB5_554:                              ;   in Loop: Header=BB5_3 Depth=1
	s_branch .LBB5_557
.LBB5_555:                              ;   Parent Loop BB5_3 Depth=1
                                        ; =>  This Inner Loop Header: Depth=2
	v_mov_b32_e32 v0, 1
	s_and_saveexec_b32 s3, s2
	s_cbranch_execz .LBB5_552
; %bb.556:                              ;   in Loop: Header=BB5_555 Depth=2
	global_load_b32 v0, v[20:21], off offset:20 scope:SCOPE_SYS
	s_wait_loadcnt 0x0
	global_inv scope:SCOPE_SYS
	v_and_b32_e32 v0, 1, v0
	s_branch .LBB5_552
.LBB5_557:                              ;   in Loop: Header=BB5_3 Depth=1
	global_load_b64 v[20:21], v[6:7], off
	s_wait_xcnt 0x0
	s_and_saveexec_b32 s16, s2
	s_cbranch_execz .LBB5_561
; %bb.558:                              ;   in Loop: Header=BB5_3 Depth=1
	s_clause 0x2
	global_load_b64 v[6:7], v1, s[12:13] offset:40
	global_load_b64 v[24:25], v1, s[12:13] offset:24 scope:SCOPE_SYS
	global_load_b64 v[16:17], v1, s[12:13]
	s_wait_loadcnt 0x2
	v_readfirstlane_b32 s18, v6
	v_readfirstlane_b32 s19, v7
	s_add_nc_u64 s[2:3], s[18:19], 1
	s_delay_alu instid0(SALU_CYCLE_1) | instskip(NEXT) | instid1(SALU_CYCLE_1)
	s_add_nc_u64 s[14:15], s[2:3], s[14:15]
	s_cmp_eq_u64 s[14:15], 0
	s_cselect_b32 s3, s3, s15
	s_cselect_b32 s2, s2, s14
	s_delay_alu instid0(SALU_CYCLE_1) | instskip(SKIP_1) | instid1(SALU_CYCLE_1)
	v_dual_mov_b32 v23, s3 :: v_dual_mov_b32 v22, s2
	s_and_b64 s[14:15], s[2:3], s[18:19]
	s_mul_u64 s[14:15], s[14:15], 24
	s_wait_loadcnt 0x0
	v_add_nc_u64_e32 v[6:7], s[14:15], v[16:17]
	global_store_b64 v[6:7], v[24:25], off
	global_wb scope:SCOPE_SYS
	s_wait_storecnt 0x0
	s_wait_xcnt 0x0
	global_atomic_cmpswap_b64 v[18:19], v1, v[22:25], s[12:13] offset:24 th:TH_ATOMIC_RETURN scope:SCOPE_SYS
	s_wait_loadcnt 0x0
	v_cmp_ne_u64_e32 vcc_lo, v[18:19], v[24:25]
	s_wait_xcnt 0x0
	s_and_b32 exec_lo, exec_lo, vcc_lo
	s_cbranch_execz .LBB5_561
; %bb.559:                              ;   in Loop: Header=BB5_3 Depth=1
	s_mov_b32 s14, 0
.LBB5_560:                              ;   Parent Loop BB5_3 Depth=1
                                        ; =>  This Inner Loop Header: Depth=2
	v_dual_mov_b32 v16, s2 :: v_dual_mov_b32 v17, s3
	s_sleep 1
	global_store_b64 v[6:7], v[18:19], off
	global_wb scope:SCOPE_SYS
	s_wait_storecnt 0x0
	s_wait_xcnt 0x0
	global_atomic_cmpswap_b64 v[16:17], v1, v[16:19], s[12:13] offset:24 th:TH_ATOMIC_RETURN scope:SCOPE_SYS
	s_wait_loadcnt 0x0
	v_cmp_eq_u64_e32 vcc_lo, v[16:17], v[18:19]
	s_wait_xcnt 0x0
	v_mov_b64_e32 v[18:19], v[16:17]
	s_or_b32 s14, vcc_lo, s14
	s_delay_alu instid0(SALU_CYCLE_1)
	s_and_not1_b32 exec_lo, exec_lo, s14
	s_cbranch_execnz .LBB5_560
.LBB5_561:                              ;   in Loop: Header=BB5_3 Depth=1
	s_or_b32 exec_lo, exec_lo, s16
	s_delay_alu instid0(SALU_CYCLE_1)
	s_and_b32 vcc_lo, exec_lo, s25
	s_cbranch_vccz .LBB5_719
; %bb.562:                              ;   in Loop: Header=BB5_3 Depth=1
	s_wait_loadcnt 0x0
	v_dual_mov_b32 v17, v21 :: v_dual_bitop2_b32 v6, 2, v20 bitop3:0x40
	v_and_b32_e32 v16, -3, v20
	s_mov_b64 s[16:17], 6
	s_get_pc_i64 s[14:15]
	s_add_nc_u64 s[14:15], s[14:15], .str.7@rel64+4
	s_branch .LBB5_564
.LBB5_563:                              ;   in Loop: Header=BB5_564 Depth=2
	s_or_b32 exec_lo, exec_lo, s22
	s_sub_nc_u64 s[16:17], s[16:17], s[18:19]
	s_add_nc_u64 s[14:15], s[14:15], s[18:19]
	s_cmp_lg_u64 s[16:17], 0
	s_cbranch_scc0 .LBB5_639
.LBB5_564:                              ;   Parent Loop BB5_3 Depth=1
                                        ; =>  This Loop Header: Depth=2
                                        ;       Child Loop BB5_567 Depth 3
                                        ;       Child Loop BB5_574 Depth 3
	;; [unrolled: 1-line block ×11, first 2 shown]
	v_min_u64 v[18:19], s[16:17], 56
	v_cmp_gt_u64_e64 s2, s[16:17], 7
	s_and_b32 vcc_lo, exec_lo, s2
	v_readfirstlane_b32 s18, v18
	v_readfirstlane_b32 s19, v19
	s_cbranch_vccnz .LBB5_569
; %bb.565:                              ;   in Loop: Header=BB5_564 Depth=2
	v_mov_b64_e32 v[18:19], 0
	s_cmp_eq_u64 s[16:17], 0
	s_cbranch_scc1 .LBB5_568
; %bb.566:                              ;   in Loop: Header=BB5_564 Depth=2
	s_mov_b64 s[2:3], 0
	s_mov_b64 s[20:21], 0
.LBB5_567:                              ;   Parent Loop BB5_3 Depth=1
                                        ;     Parent Loop BB5_564 Depth=2
                                        ; =>    This Inner Loop Header: Depth=3
	s_wait_xcnt 0x0
	s_add_nc_u64 s[22:23], s[14:15], s[20:21]
	s_add_nc_u64 s[20:21], s[20:21], 1
	global_load_u8 v0, v1, s[22:23]
	s_cmp_lg_u32 s18, s20
	s_wait_loadcnt 0x0
	v_and_b32_e32 v0, 0xffff, v0
	s_delay_alu instid0(VALU_DEP_1) | instskip(SKIP_1) | instid1(VALU_DEP_1)
	v_lshlrev_b64_e32 v[22:23], s2, v[0:1]
	s_add_nc_u64 s[2:3], s[2:3], 8
	v_or_b32_e32 v18, v22, v18
	s_delay_alu instid0(VALU_DEP_2)
	v_or_b32_e32 v19, v23, v19
	s_cbranch_scc1 .LBB5_567
.LBB5_568:                              ;   in Loop: Header=BB5_564 Depth=2
	s_mov_b64 s[2:3], s[14:15]
	s_mov_b32 s28, 0
	s_cbranch_execz .LBB5_570
	s_branch .LBB5_571
.LBB5_569:                              ;   in Loop: Header=BB5_564 Depth=2
	s_add_nc_u64 s[2:3], s[14:15], 8
	s_mov_b32 s28, 0
.LBB5_570:                              ;   in Loop: Header=BB5_564 Depth=2
	global_load_b64 v[18:19], v1, s[14:15]
	s_add_co_i32 s28, s18, -8
.LBB5_571:                              ;   in Loop: Header=BB5_564 Depth=2
	s_delay_alu instid0(SALU_CYCLE_1)
	s_cmp_gt_u32 s28, 7
	s_cbranch_scc1 .LBB5_576
; %bb.572:                              ;   in Loop: Header=BB5_564 Depth=2
	v_mov_b64_e32 v[22:23], 0
	s_cmp_eq_u32 s28, 0
	s_cbranch_scc1 .LBB5_575
; %bb.573:                              ;   in Loop: Header=BB5_564 Depth=2
	s_mov_b64 s[20:21], 0
	s_wait_xcnt 0x0
	s_mov_b64 s[22:23], 0
.LBB5_574:                              ;   Parent Loop BB5_3 Depth=1
                                        ;     Parent Loop BB5_564 Depth=2
                                        ; =>    This Inner Loop Header: Depth=3
	s_wait_xcnt 0x0
	s_add_nc_u64 s[30:31], s[2:3], s[22:23]
	s_add_nc_u64 s[22:23], s[22:23], 1
	global_load_u8 v0, v1, s[30:31]
	s_cmp_lg_u32 s28, s22
	s_wait_loadcnt 0x0
	v_and_b32_e32 v0, 0xffff, v0
	s_delay_alu instid0(VALU_DEP_1) | instskip(SKIP_1) | instid1(VALU_DEP_1)
	v_lshlrev_b64_e32 v[24:25], s20, v[0:1]
	s_add_nc_u64 s[20:21], s[20:21], 8
	v_or_b32_e32 v22, v24, v22
	s_delay_alu instid0(VALU_DEP_2)
	v_or_b32_e32 v23, v25, v23
	s_cbranch_scc1 .LBB5_574
.LBB5_575:                              ;   in Loop: Header=BB5_564 Depth=2
	s_wait_xcnt 0x0
	s_mov_b64 s[20:21], s[2:3]
	s_mov_b32 s29, 0
	s_cbranch_execz .LBB5_577
	s_branch .LBB5_578
.LBB5_576:                              ;   in Loop: Header=BB5_564 Depth=2
	s_add_nc_u64 s[20:21], s[2:3], 8
	s_wait_xcnt 0x0
                                        ; implicit-def: $vgpr22_vgpr23
	s_mov_b32 s29, 0
.LBB5_577:                              ;   in Loop: Header=BB5_564 Depth=2
	global_load_b64 v[22:23], v1, s[2:3]
	s_add_co_i32 s29, s28, -8
.LBB5_578:                              ;   in Loop: Header=BB5_564 Depth=2
	s_delay_alu instid0(SALU_CYCLE_1)
	s_cmp_gt_u32 s29, 7
	s_cbranch_scc1 .LBB5_583
; %bb.579:                              ;   in Loop: Header=BB5_564 Depth=2
	v_mov_b64_e32 v[24:25], 0
	s_cmp_eq_u32 s29, 0
	s_cbranch_scc1 .LBB5_582
; %bb.580:                              ;   in Loop: Header=BB5_564 Depth=2
	s_wait_xcnt 0x0
	s_mov_b64 s[2:3], 0
	s_mov_b64 s[22:23], 0
.LBB5_581:                              ;   Parent Loop BB5_3 Depth=1
                                        ;     Parent Loop BB5_564 Depth=2
                                        ; =>    This Inner Loop Header: Depth=3
	s_wait_xcnt 0x0
	s_add_nc_u64 s[30:31], s[20:21], s[22:23]
	s_add_nc_u64 s[22:23], s[22:23], 1
	global_load_u8 v0, v1, s[30:31]
	s_cmp_lg_u32 s29, s22
	s_wait_loadcnt 0x0
	v_and_b32_e32 v0, 0xffff, v0
	s_delay_alu instid0(VALU_DEP_1) | instskip(SKIP_1) | instid1(VALU_DEP_1)
	v_lshlrev_b64_e32 v[26:27], s2, v[0:1]
	s_add_nc_u64 s[2:3], s[2:3], 8
	v_or_b32_e32 v24, v26, v24
	s_delay_alu instid0(VALU_DEP_2)
	v_or_b32_e32 v25, v27, v25
	s_cbranch_scc1 .LBB5_581
.LBB5_582:                              ;   in Loop: Header=BB5_564 Depth=2
	s_wait_xcnt 0x0
	s_mov_b64 s[2:3], s[20:21]
	s_mov_b32 s28, 0
	s_cbranch_execz .LBB5_584
	s_branch .LBB5_585
.LBB5_583:                              ;   in Loop: Header=BB5_564 Depth=2
	s_wait_xcnt 0x0
	s_add_nc_u64 s[2:3], s[20:21], 8
	s_mov_b32 s28, 0
.LBB5_584:                              ;   in Loop: Header=BB5_564 Depth=2
	global_load_b64 v[24:25], v1, s[20:21]
	s_add_co_i32 s28, s29, -8
.LBB5_585:                              ;   in Loop: Header=BB5_564 Depth=2
	s_delay_alu instid0(SALU_CYCLE_1)
	s_cmp_gt_u32 s28, 7
	s_cbranch_scc1 .LBB5_590
; %bb.586:                              ;   in Loop: Header=BB5_564 Depth=2
	v_mov_b64_e32 v[26:27], 0
	s_cmp_eq_u32 s28, 0
	s_cbranch_scc1 .LBB5_589
; %bb.587:                              ;   in Loop: Header=BB5_564 Depth=2
	s_wait_xcnt 0x0
	s_mov_b64 s[20:21], 0
	s_mov_b64 s[22:23], 0
.LBB5_588:                              ;   Parent Loop BB5_3 Depth=1
                                        ;     Parent Loop BB5_564 Depth=2
                                        ; =>    This Inner Loop Header: Depth=3
	s_wait_xcnt 0x0
	s_add_nc_u64 s[30:31], s[2:3], s[22:23]
	s_add_nc_u64 s[22:23], s[22:23], 1
	global_load_u8 v0, v1, s[30:31]
	s_cmp_lg_u32 s28, s22
	s_wait_loadcnt 0x0
	v_and_b32_e32 v0, 0xffff, v0
	s_delay_alu instid0(VALU_DEP_1) | instskip(SKIP_1) | instid1(VALU_DEP_1)
	v_lshlrev_b64_e32 v[28:29], s20, v[0:1]
	s_add_nc_u64 s[20:21], s[20:21], 8
	v_or_b32_e32 v26, v28, v26
	s_delay_alu instid0(VALU_DEP_2)
	v_or_b32_e32 v27, v29, v27
	s_cbranch_scc1 .LBB5_588
.LBB5_589:                              ;   in Loop: Header=BB5_564 Depth=2
	s_wait_xcnt 0x0
	s_mov_b64 s[20:21], s[2:3]
	s_mov_b32 s29, 0
	s_cbranch_execz .LBB5_591
	s_branch .LBB5_592
.LBB5_590:                              ;   in Loop: Header=BB5_564 Depth=2
	s_wait_xcnt 0x0
	s_add_nc_u64 s[20:21], s[2:3], 8
                                        ; implicit-def: $vgpr26_vgpr27
	s_mov_b32 s29, 0
.LBB5_591:                              ;   in Loop: Header=BB5_564 Depth=2
	global_load_b64 v[26:27], v1, s[2:3]
	s_add_co_i32 s29, s28, -8
.LBB5_592:                              ;   in Loop: Header=BB5_564 Depth=2
	s_delay_alu instid0(SALU_CYCLE_1)
	s_cmp_gt_u32 s29, 7
	s_cbranch_scc1 .LBB5_597
; %bb.593:                              ;   in Loop: Header=BB5_564 Depth=2
	v_mov_b64_e32 v[28:29], 0
	s_cmp_eq_u32 s29, 0
	s_cbranch_scc1 .LBB5_596
; %bb.594:                              ;   in Loop: Header=BB5_564 Depth=2
	s_wait_xcnt 0x0
	s_mov_b64 s[2:3], 0
	s_mov_b64 s[22:23], 0
.LBB5_595:                              ;   Parent Loop BB5_3 Depth=1
                                        ;     Parent Loop BB5_564 Depth=2
                                        ; =>    This Inner Loop Header: Depth=3
	s_wait_xcnt 0x0
	s_add_nc_u64 s[30:31], s[20:21], s[22:23]
	s_add_nc_u64 s[22:23], s[22:23], 1
	global_load_u8 v0, v1, s[30:31]
	s_cmp_lg_u32 s29, s22
	s_wait_loadcnt 0x0
	v_and_b32_e32 v0, 0xffff, v0
	s_delay_alu instid0(VALU_DEP_1) | instskip(SKIP_1) | instid1(VALU_DEP_1)
	v_lshlrev_b64_e32 v[30:31], s2, v[0:1]
	s_add_nc_u64 s[2:3], s[2:3], 8
	v_or_b32_e32 v28, v30, v28
	s_delay_alu instid0(VALU_DEP_2)
	v_or_b32_e32 v29, v31, v29
	s_cbranch_scc1 .LBB5_595
.LBB5_596:                              ;   in Loop: Header=BB5_564 Depth=2
	s_wait_xcnt 0x0
	s_mov_b64 s[2:3], s[20:21]
	s_mov_b32 s28, 0
	s_cbranch_execz .LBB5_598
	s_branch .LBB5_599
.LBB5_597:                              ;   in Loop: Header=BB5_564 Depth=2
	s_wait_xcnt 0x0
	s_add_nc_u64 s[2:3], s[20:21], 8
	s_mov_b32 s28, 0
.LBB5_598:                              ;   in Loop: Header=BB5_564 Depth=2
	global_load_b64 v[28:29], v1, s[20:21]
	s_add_co_i32 s28, s29, -8
.LBB5_599:                              ;   in Loop: Header=BB5_564 Depth=2
	s_delay_alu instid0(SALU_CYCLE_1)
	s_cmp_gt_u32 s28, 7
	s_cbranch_scc1 .LBB5_604
; %bb.600:                              ;   in Loop: Header=BB5_564 Depth=2
	v_mov_b64_e32 v[30:31], 0
	s_cmp_eq_u32 s28, 0
	s_cbranch_scc1 .LBB5_603
; %bb.601:                              ;   in Loop: Header=BB5_564 Depth=2
	s_wait_xcnt 0x0
	s_mov_b64 s[20:21], 0
	s_mov_b64 s[22:23], 0
.LBB5_602:                              ;   Parent Loop BB5_3 Depth=1
                                        ;     Parent Loop BB5_564 Depth=2
                                        ; =>    This Inner Loop Header: Depth=3
	s_wait_xcnt 0x0
	s_add_nc_u64 s[30:31], s[2:3], s[22:23]
	s_add_nc_u64 s[22:23], s[22:23], 1
	global_load_u8 v0, v1, s[30:31]
	s_cmp_lg_u32 s28, s22
	s_wait_loadcnt 0x0
	v_and_b32_e32 v0, 0xffff, v0
	s_delay_alu instid0(VALU_DEP_1) | instskip(SKIP_1) | instid1(VALU_DEP_1)
	v_lshlrev_b64_e32 v[32:33], s20, v[0:1]
	s_add_nc_u64 s[20:21], s[20:21], 8
	v_or_b32_e32 v30, v32, v30
	s_delay_alu instid0(VALU_DEP_2)
	v_or_b32_e32 v31, v33, v31
	s_cbranch_scc1 .LBB5_602
.LBB5_603:                              ;   in Loop: Header=BB5_564 Depth=2
	s_wait_xcnt 0x0
	s_mov_b64 s[20:21], s[2:3]
	s_mov_b32 s29, 0
	s_cbranch_execz .LBB5_605
	s_branch .LBB5_606
.LBB5_604:                              ;   in Loop: Header=BB5_564 Depth=2
	s_wait_xcnt 0x0
	s_add_nc_u64 s[20:21], s[2:3], 8
                                        ; implicit-def: $vgpr30_vgpr31
	s_mov_b32 s29, 0
.LBB5_605:                              ;   in Loop: Header=BB5_564 Depth=2
	global_load_b64 v[30:31], v1, s[2:3]
	s_add_co_i32 s29, s28, -8
.LBB5_606:                              ;   in Loop: Header=BB5_564 Depth=2
	s_delay_alu instid0(SALU_CYCLE_1)
	s_cmp_gt_u32 s29, 7
	s_cbranch_scc1 .LBB5_611
; %bb.607:                              ;   in Loop: Header=BB5_564 Depth=2
	v_mov_b64_e32 v[32:33], 0
	s_cmp_eq_u32 s29, 0
	s_cbranch_scc1 .LBB5_610
; %bb.608:                              ;   in Loop: Header=BB5_564 Depth=2
	s_wait_xcnt 0x0
	s_mov_b64 s[2:3], 0
	s_mov_b64 s[22:23], s[20:21]
.LBB5_609:                              ;   Parent Loop BB5_3 Depth=1
                                        ;     Parent Loop BB5_564 Depth=2
                                        ; =>    This Inner Loop Header: Depth=3
	global_load_u8 v0, v1, s[22:23]
	s_add_co_i32 s29, s29, -1
	s_wait_xcnt 0x0
	s_add_nc_u64 s[22:23], s[22:23], 1
	s_cmp_lg_u32 s29, 0
	s_wait_loadcnt 0x0
	v_and_b32_e32 v0, 0xffff, v0
	s_delay_alu instid0(VALU_DEP_1) | instskip(SKIP_1) | instid1(VALU_DEP_1)
	v_lshlrev_b64_e32 v[34:35], s2, v[0:1]
	s_add_nc_u64 s[2:3], s[2:3], 8
	v_or_b32_e32 v32, v34, v32
	s_delay_alu instid0(VALU_DEP_2)
	v_or_b32_e32 v33, v35, v33
	s_cbranch_scc1 .LBB5_609
.LBB5_610:                              ;   in Loop: Header=BB5_564 Depth=2
	s_wait_xcnt 0x0
	s_cbranch_execz .LBB5_612
	s_branch .LBB5_613
.LBB5_611:                              ;   in Loop: Header=BB5_564 Depth=2
	s_wait_xcnt 0x0
.LBB5_612:                              ;   in Loop: Header=BB5_564 Depth=2
	global_load_b64 v[32:33], v1, s[20:21]
.LBB5_613:                              ;   in Loop: Header=BB5_564 Depth=2
	v_readfirstlane_b32 s2, v38
	v_mov_b64_e32 v[54:55], 0
	s_delay_alu instid0(VALU_DEP_2)
	v_cmp_eq_u32_e64 s2, s2, v38
	s_wait_xcnt 0x0
	s_and_saveexec_b32 s3, s2
	s_cbranch_execz .LBB5_619
; %bb.614:                              ;   in Loop: Header=BB5_564 Depth=2
	global_load_b64 v[36:37], v1, s[12:13] offset:24 scope:SCOPE_SYS
	s_wait_loadcnt 0x0
	global_inv scope:SCOPE_SYS
	s_clause 0x1
	global_load_b64 v[34:35], v1, s[12:13] offset:40
	global_load_b64 v[54:55], v1, s[12:13]
	s_mov_b32 s20, exec_lo
	s_wait_loadcnt 0x1
	v_and_b32_e32 v34, v34, v36
	v_and_b32_e32 v35, v35, v37
	s_delay_alu instid0(VALU_DEP_1) | instskip(SKIP_1) | instid1(VALU_DEP_1)
	v_mul_u64_e32 v[34:35], 24, v[34:35]
	s_wait_loadcnt 0x0
	v_add_nc_u64_e32 v[34:35], v[54:55], v[34:35]
	global_load_b64 v[34:35], v[34:35], off scope:SCOPE_SYS
	s_wait_xcnt 0x0
	s_wait_loadcnt 0x0
	global_atomic_cmpswap_b64 v[54:55], v1, v[34:37], s[12:13] offset:24 th:TH_ATOMIC_RETURN scope:SCOPE_SYS
	s_wait_loadcnt 0x0
	global_inv scope:SCOPE_SYS
	s_wait_xcnt 0x0
	v_cmpx_ne_u64_e64 v[54:55], v[36:37]
	s_cbranch_execz .LBB5_618
; %bb.615:                              ;   in Loop: Header=BB5_564 Depth=2
	s_mov_b32 s21, 0
.LBB5_616:                              ;   Parent Loop BB5_3 Depth=1
                                        ;     Parent Loop BB5_564 Depth=2
                                        ; =>    This Inner Loop Header: Depth=3
	s_sleep 1
	s_clause 0x1
	global_load_b64 v[34:35], v1, s[12:13] offset:40
	global_load_b64 v[56:57], v1, s[12:13]
	v_mov_b64_e32 v[36:37], v[54:55]
	s_wait_loadcnt 0x1
	s_delay_alu instid0(VALU_DEP_1) | instskip(SKIP_1) | instid1(VALU_DEP_1)
	v_and_b32_e32 v0, v34, v36
	s_wait_loadcnt 0x0
	v_mad_nc_u64_u32 v[54:55], v0, 24, v[56:57]
	s_delay_alu instid0(VALU_DEP_3) | instskip(NEXT) | instid1(VALU_DEP_1)
	v_and_b32_e32 v0, v35, v37
	v_mad_u32 v55, v0, 24, v55
	global_load_b64 v[34:35], v[54:55], off scope:SCOPE_SYS
	s_wait_xcnt 0x0
	s_wait_loadcnt 0x0
	global_atomic_cmpswap_b64 v[54:55], v1, v[34:37], s[12:13] offset:24 th:TH_ATOMIC_RETURN scope:SCOPE_SYS
	s_wait_loadcnt 0x0
	global_inv scope:SCOPE_SYS
	v_cmp_eq_u64_e32 vcc_lo, v[54:55], v[36:37]
	s_or_b32 s21, vcc_lo, s21
	s_wait_xcnt 0x0
	s_and_not1_b32 exec_lo, exec_lo, s21
	s_cbranch_execnz .LBB5_616
; %bb.617:                              ;   in Loop: Header=BB5_564 Depth=2
	s_or_b32 exec_lo, exec_lo, s21
.LBB5_618:                              ;   in Loop: Header=BB5_564 Depth=2
	s_delay_alu instid0(SALU_CYCLE_1)
	s_or_b32 exec_lo, exec_lo, s20
.LBB5_619:                              ;   in Loop: Header=BB5_564 Depth=2
	s_delay_alu instid0(SALU_CYCLE_1)
	s_or_b32 exec_lo, exec_lo, s3
	s_clause 0x1
	global_load_b64 v[56:57], v1, s[12:13] offset:40
	global_load_b128 v[34:37], v1, s[12:13]
	v_readfirstlane_b32 s20, v54
	v_readfirstlane_b32 s21, v55
	s_mov_b32 s3, exec_lo
	s_wait_loadcnt 0x1
	v_and_b32_e32 v56, s20, v56
	v_and_b32_e32 v57, s21, v57
	s_delay_alu instid0(VALU_DEP_1) | instskip(SKIP_1) | instid1(VALU_DEP_1)
	v_mul_u64_e32 v[54:55], 24, v[56:57]
	s_wait_loadcnt 0x0
	v_add_nc_u64_e32 v[54:55], v[34:35], v[54:55]
	s_wait_xcnt 0x0
	s_and_saveexec_b32 s22, s2
	s_cbranch_execz .LBB5_621
; %bb.620:                              ;   in Loop: Header=BB5_564 Depth=2
	v_mov_b32_e32 v0, s3
	global_store_b128 v[54:55], v[0:3], off offset:8
.LBB5_621:                              ;   in Loop: Header=BB5_564 Depth=2
	s_wait_xcnt 0x0
	s_or_b32 exec_lo, exec_lo, s22
	v_cmp_lt_u64_e64 vcc_lo, s[16:17], 57
	v_lshlrev_b64_e32 v[56:57], 12, v[56:57]
	v_and_b32_e32 v5, 0xffffff1f, v16
	s_lshl_b32 s3, s18, 2
	s_delay_alu instid0(SALU_CYCLE_1) | instskip(SKIP_1) | instid1(VALU_DEP_3)
	s_add_co_i32 s3, s3, 28
	v_cndmask_b32_e32 v0, 0, v6, vcc_lo
	v_add_nc_u64_e32 v[36:37], v[36:37], v[56:57]
	s_delay_alu instid0(VALU_DEP_2) | instskip(NEXT) | instid1(VALU_DEP_2)
	v_or_b32_e32 v0, v5, v0
	v_readfirstlane_b32 s22, v36
	s_delay_alu instid0(VALU_DEP_3) | instskip(NEXT) | instid1(VALU_DEP_3)
	v_readfirstlane_b32 s23, v37
	v_and_or_b32 v16, 0x1e0, s3, v0
	s_clause 0x3
	global_store_b128 v46, v[16:19], s[22:23]
	global_store_b128 v46, v[22:25], s[22:23] offset:16
	global_store_b128 v46, v[26:29], s[22:23] offset:32
	;; [unrolled: 1-line block ×3, first 2 shown]
	s_wait_xcnt 0x0
	s_and_saveexec_b32 s3, s2
	s_cbranch_execz .LBB5_629
; %bb.622:                              ;   in Loop: Header=BB5_564 Depth=2
	s_clause 0x1
	global_load_b64 v[26:27], v1, s[12:13] offset:32 scope:SCOPE_SYS
	global_load_b64 v[16:17], v1, s[12:13] offset:40
	s_mov_b32 s22, exec_lo
	v_dual_mov_b32 v24, s20 :: v_dual_mov_b32 v25, s21
	s_wait_loadcnt 0x0
	v_and_b32_e32 v17, s21, v17
	v_and_b32_e32 v16, s20, v16
	s_delay_alu instid0(VALU_DEP_1) | instskip(NEXT) | instid1(VALU_DEP_1)
	v_mul_u64_e32 v[16:17], 24, v[16:17]
	v_add_nc_u64_e32 v[22:23], v[34:35], v[16:17]
	global_store_b64 v[22:23], v[26:27], off
	global_wb scope:SCOPE_SYS
	s_wait_storecnt 0x0
	s_wait_xcnt 0x0
	global_atomic_cmpswap_b64 v[18:19], v1, v[24:27], s[12:13] offset:32 th:TH_ATOMIC_RETURN scope:SCOPE_SYS
	s_wait_loadcnt 0x0
	v_cmpx_ne_u64_e64 v[18:19], v[26:27]
	s_cbranch_execz .LBB5_625
; %bb.623:                              ;   in Loop: Header=BB5_564 Depth=2
	s_mov_b32 s23, 0
.LBB5_624:                              ;   Parent Loop BB5_3 Depth=1
                                        ;     Parent Loop BB5_564 Depth=2
                                        ; =>    This Inner Loop Header: Depth=3
	v_dual_mov_b32 v16, s20 :: v_dual_mov_b32 v17, s21
	s_sleep 1
	global_store_b64 v[22:23], v[18:19], off
	global_wb scope:SCOPE_SYS
	s_wait_storecnt 0x0
	s_wait_xcnt 0x0
	global_atomic_cmpswap_b64 v[16:17], v1, v[16:19], s[12:13] offset:32 th:TH_ATOMIC_RETURN scope:SCOPE_SYS
	s_wait_loadcnt 0x0
	v_cmp_eq_u64_e32 vcc_lo, v[16:17], v[18:19]
	v_mov_b64_e32 v[18:19], v[16:17]
	s_or_b32 s23, vcc_lo, s23
	s_delay_alu instid0(SALU_CYCLE_1)
	s_and_not1_b32 exec_lo, exec_lo, s23
	s_cbranch_execnz .LBB5_624
.LBB5_625:                              ;   in Loop: Header=BB5_564 Depth=2
	s_or_b32 exec_lo, exec_lo, s22
	global_load_b64 v[16:17], v1, s[12:13] offset:16
	s_mov_b32 s23, exec_lo
	s_mov_b32 s22, exec_lo
	v_mbcnt_lo_u32_b32 v0, s23, 0
	s_wait_xcnt 0x0
	s_delay_alu instid0(VALU_DEP_1)
	v_cmpx_eq_u32_e32 0, v0
	s_cbranch_execz .LBB5_627
; %bb.626:                              ;   in Loop: Header=BB5_564 Depth=2
	s_bcnt1_i32_b32 s23, s23
	s_delay_alu instid0(SALU_CYCLE_1)
	v_mov_b32_e32 v0, s23
	global_wb scope:SCOPE_SYS
	s_wait_loadcnt 0x0
	s_wait_storecnt 0x0
	global_atomic_add_u64 v[16:17], v[0:1], off offset:8 scope:SCOPE_SYS
.LBB5_627:                              ;   in Loop: Header=BB5_564 Depth=2
	s_wait_xcnt 0x0
	s_or_b32 exec_lo, exec_lo, s22
	s_wait_loadcnt 0x0
	global_load_b64 v[18:19], v[16:17], off offset:16
	s_wait_loadcnt 0x0
	v_cmp_eq_u64_e32 vcc_lo, 0, v[18:19]
	s_cbranch_vccnz .LBB5_629
; %bb.628:                              ;   in Loop: Header=BB5_564 Depth=2
	global_load_b32 v0, v[16:17], off offset:24
	s_wait_loadcnt 0x0
	v_readfirstlane_b32 s22, v0
	global_wb scope:SCOPE_SYS
	s_wait_storecnt 0x0
	s_wait_xcnt 0x0
	global_store_b64 v[18:19], v[0:1], off scope:SCOPE_SYS
	s_and_b32 m0, s22, 0xffffff
	s_sendmsg sendmsg(MSG_INTERRUPT)
.LBB5_629:                              ;   in Loop: Header=BB5_564 Depth=2
	s_wait_xcnt 0x0
	s_or_b32 exec_lo, exec_lo, s3
	v_mov_b32_e32 v47, v1
	s_delay_alu instid0(VALU_DEP_1)
	v_add_nc_u64_e32 v[16:17], v[36:37], v[46:47]
	s_branch .LBB5_633
.LBB5_630:                              ;   in Loop: Header=BB5_633 Depth=3
	s_wait_xcnt 0x0
	s_or_b32 exec_lo, exec_lo, s3
	s_delay_alu instid0(VALU_DEP_1)
	v_readfirstlane_b32 s3, v0
	s_cmp_eq_u32 s3, 0
	s_cbranch_scc1 .LBB5_632
; %bb.631:                              ;   in Loop: Header=BB5_633 Depth=3
	s_sleep 1
	s_cbranch_execnz .LBB5_633
	s_branch .LBB5_635
.LBB5_632:                              ;   in Loop: Header=BB5_564 Depth=2
	s_branch .LBB5_635
.LBB5_633:                              ;   Parent Loop BB5_3 Depth=1
                                        ;     Parent Loop BB5_564 Depth=2
                                        ; =>    This Inner Loop Header: Depth=3
	v_mov_b32_e32 v0, 1
	s_and_saveexec_b32 s3, s2
	s_cbranch_execz .LBB5_630
; %bb.634:                              ;   in Loop: Header=BB5_633 Depth=3
	global_load_b32 v0, v[54:55], off offset:20 scope:SCOPE_SYS
	s_wait_loadcnt 0x0
	global_inv scope:SCOPE_SYS
	v_and_b32_e32 v0, 1, v0
	s_branch .LBB5_630
.LBB5_635:                              ;   in Loop: Header=BB5_564 Depth=2
	global_load_b64 v[16:17], v[16:17], off
	s_wait_xcnt 0x0
	s_and_saveexec_b32 s22, s2
	s_cbranch_execz .LBB5_563
; %bb.636:                              ;   in Loop: Header=BB5_564 Depth=2
	s_clause 0x2
	global_load_b64 v[18:19], v1, s[12:13] offset:40
	global_load_b64 v[26:27], v1, s[12:13] offset:24 scope:SCOPE_SYS
	global_load_b64 v[22:23], v1, s[12:13]
	s_wait_loadcnt 0x2
	v_readfirstlane_b32 s28, v18
	v_readfirstlane_b32 s29, v19
	s_add_nc_u64 s[2:3], s[28:29], 1
	s_delay_alu instid0(SALU_CYCLE_1) | instskip(NEXT) | instid1(SALU_CYCLE_1)
	s_add_nc_u64 s[20:21], s[2:3], s[20:21]
	s_cmp_eq_u64 s[20:21], 0
	s_cselect_b32 s3, s3, s21
	s_cselect_b32 s2, s2, s20
	s_delay_alu instid0(SALU_CYCLE_1) | instskip(SKIP_1) | instid1(SALU_CYCLE_1)
	v_dual_mov_b32 v25, s3 :: v_dual_mov_b32 v24, s2
	s_and_b64 s[20:21], s[2:3], s[28:29]
	s_mul_u64 s[20:21], s[20:21], 24
	s_wait_loadcnt 0x0
	v_add_nc_u64_e32 v[18:19], s[20:21], v[22:23]
	global_store_b64 v[18:19], v[26:27], off
	global_wb scope:SCOPE_SYS
	s_wait_storecnt 0x0
	s_wait_xcnt 0x0
	global_atomic_cmpswap_b64 v[24:25], v1, v[24:27], s[12:13] offset:24 th:TH_ATOMIC_RETURN scope:SCOPE_SYS
	s_wait_loadcnt 0x0
	v_cmp_ne_u64_e32 vcc_lo, v[24:25], v[26:27]
	s_and_b32 exec_lo, exec_lo, vcc_lo
	s_cbranch_execz .LBB5_563
; %bb.637:                              ;   in Loop: Header=BB5_564 Depth=2
	s_mov_b32 s20, 0
.LBB5_638:                              ;   Parent Loop BB5_3 Depth=1
                                        ;     Parent Loop BB5_564 Depth=2
                                        ; =>    This Inner Loop Header: Depth=3
	v_dual_mov_b32 v22, s2 :: v_dual_mov_b32 v23, s3
	s_sleep 1
	global_store_b64 v[18:19], v[24:25], off
	global_wb scope:SCOPE_SYS
	s_wait_storecnt 0x0
	s_wait_xcnt 0x0
	global_atomic_cmpswap_b64 v[22:23], v1, v[22:25], s[12:13] offset:24 th:TH_ATOMIC_RETURN scope:SCOPE_SYS
	s_wait_loadcnt 0x0
	v_cmp_eq_u64_e32 vcc_lo, v[22:23], v[24:25]
	v_mov_b64_e32 v[24:25], v[22:23]
	s_or_b32 s20, vcc_lo, s20
	s_delay_alu instid0(SALU_CYCLE_1)
	s_and_not1_b32 exec_lo, exec_lo, s20
	s_cbranch_execnz .LBB5_638
	s_branch .LBB5_563
.LBB5_639:                              ;   in Loop: Header=BB5_3 Depth=1
.LBB5_640:                              ;   in Loop: Header=BB5_3 Depth=1
	s_and_b32 vcc_lo, exec_lo, s26
	s_cbranch_vccz .LBB5_747
.LBB5_641:                              ;   in Loop: Header=BB5_3 Depth=1
	s_wait_loadcnt 0x0
	v_dual_mov_b32 v19, v17 :: v_dual_bitop2_b32 v6, 2, v16 bitop3:0x40
	v_and_b32_e32 v18, -3, v16
	s_mov_b64 s[16:17], 45
	s_get_pc_i64 s[14:15]
	s_add_nc_u64 s[14:15], s[14:15], .str.6@rel64+4
	s_branch .LBB5_643
.LBB5_642:                              ;   in Loop: Header=BB5_643 Depth=2
	s_or_b32 exec_lo, exec_lo, s22
	s_sub_nc_u64 s[16:17], s[16:17], s[18:19]
	s_add_nc_u64 s[14:15], s[14:15], s[18:19]
	s_cmp_lg_u64 s[16:17], 0
	s_cbranch_scc0 .LBB5_718
.LBB5_643:                              ;   Parent Loop BB5_3 Depth=1
                                        ; =>  This Loop Header: Depth=2
                                        ;       Child Loop BB5_646 Depth 3
                                        ;       Child Loop BB5_653 Depth 3
	;; [unrolled: 1-line block ×11, first 2 shown]
	v_min_u64 v[20:21], s[16:17], 56
	v_cmp_gt_u64_e64 s2, s[16:17], 7
	s_and_b32 vcc_lo, exec_lo, s2
	v_readfirstlane_b32 s18, v20
	v_readfirstlane_b32 s19, v21
	s_cbranch_vccnz .LBB5_648
; %bb.644:                              ;   in Loop: Header=BB5_643 Depth=2
	v_mov_b64_e32 v[20:21], 0
	s_cmp_eq_u64 s[16:17], 0
	s_cbranch_scc1 .LBB5_647
; %bb.645:                              ;   in Loop: Header=BB5_643 Depth=2
	s_mov_b64 s[2:3], 0
	s_mov_b64 s[20:21], 0
.LBB5_646:                              ;   Parent Loop BB5_3 Depth=1
                                        ;     Parent Loop BB5_643 Depth=2
                                        ; =>    This Inner Loop Header: Depth=3
	s_wait_xcnt 0x0
	s_add_nc_u64 s[22:23], s[14:15], s[20:21]
	s_add_nc_u64 s[20:21], s[20:21], 1
	global_load_u8 v0, v1, s[22:23]
	s_cmp_lg_u32 s18, s20
	s_wait_loadcnt 0x0
	v_and_b32_e32 v0, 0xffff, v0
	s_delay_alu instid0(VALU_DEP_1) | instskip(SKIP_1) | instid1(VALU_DEP_1)
	v_lshlrev_b64_e32 v[22:23], s2, v[0:1]
	s_add_nc_u64 s[2:3], s[2:3], 8
	v_or_b32_e32 v20, v22, v20
	s_delay_alu instid0(VALU_DEP_2)
	v_or_b32_e32 v21, v23, v21
	s_cbranch_scc1 .LBB5_646
.LBB5_647:                              ;   in Loop: Header=BB5_643 Depth=2
	s_mov_b64 s[2:3], s[14:15]
	s_mov_b32 s28, 0
	s_cbranch_execz .LBB5_649
	s_branch .LBB5_650
.LBB5_648:                              ;   in Loop: Header=BB5_643 Depth=2
	s_add_nc_u64 s[2:3], s[14:15], 8
	s_mov_b32 s28, 0
.LBB5_649:                              ;   in Loop: Header=BB5_643 Depth=2
	global_load_b64 v[20:21], v1, s[14:15]
	s_add_co_i32 s28, s18, -8
.LBB5_650:                              ;   in Loop: Header=BB5_643 Depth=2
	s_delay_alu instid0(SALU_CYCLE_1)
	s_cmp_gt_u32 s28, 7
	s_cbranch_scc1 .LBB5_655
; %bb.651:                              ;   in Loop: Header=BB5_643 Depth=2
	v_mov_b64_e32 v[22:23], 0
	s_cmp_eq_u32 s28, 0
	s_cbranch_scc1 .LBB5_654
; %bb.652:                              ;   in Loop: Header=BB5_643 Depth=2
	s_mov_b64 s[20:21], 0
	s_wait_xcnt 0x0
	s_mov_b64 s[22:23], 0
.LBB5_653:                              ;   Parent Loop BB5_3 Depth=1
                                        ;     Parent Loop BB5_643 Depth=2
                                        ; =>    This Inner Loop Header: Depth=3
	s_wait_xcnt 0x0
	s_add_nc_u64 s[30:31], s[2:3], s[22:23]
	s_add_nc_u64 s[22:23], s[22:23], 1
	global_load_u8 v0, v1, s[30:31]
	s_cmp_lg_u32 s28, s22
	s_wait_loadcnt 0x0
	v_and_b32_e32 v0, 0xffff, v0
	s_delay_alu instid0(VALU_DEP_1) | instskip(SKIP_1) | instid1(VALU_DEP_1)
	v_lshlrev_b64_e32 v[24:25], s20, v[0:1]
	s_add_nc_u64 s[20:21], s[20:21], 8
	v_or_b32_e32 v22, v24, v22
	s_delay_alu instid0(VALU_DEP_2)
	v_or_b32_e32 v23, v25, v23
	s_cbranch_scc1 .LBB5_653
.LBB5_654:                              ;   in Loop: Header=BB5_643 Depth=2
	s_wait_xcnt 0x0
	s_mov_b64 s[20:21], s[2:3]
	s_mov_b32 s29, 0
	s_cbranch_execz .LBB5_656
	s_branch .LBB5_657
.LBB5_655:                              ;   in Loop: Header=BB5_643 Depth=2
	s_add_nc_u64 s[20:21], s[2:3], 8
	s_wait_xcnt 0x0
                                        ; implicit-def: $vgpr22_vgpr23
	s_mov_b32 s29, 0
.LBB5_656:                              ;   in Loop: Header=BB5_643 Depth=2
	global_load_b64 v[22:23], v1, s[2:3]
	s_add_co_i32 s29, s28, -8
.LBB5_657:                              ;   in Loop: Header=BB5_643 Depth=2
	s_delay_alu instid0(SALU_CYCLE_1)
	s_cmp_gt_u32 s29, 7
	s_cbranch_scc1 .LBB5_662
; %bb.658:                              ;   in Loop: Header=BB5_643 Depth=2
	v_mov_b64_e32 v[24:25], 0
	s_cmp_eq_u32 s29, 0
	s_cbranch_scc1 .LBB5_661
; %bb.659:                              ;   in Loop: Header=BB5_643 Depth=2
	s_wait_xcnt 0x0
	s_mov_b64 s[2:3], 0
	s_mov_b64 s[22:23], 0
.LBB5_660:                              ;   Parent Loop BB5_3 Depth=1
                                        ;     Parent Loop BB5_643 Depth=2
                                        ; =>    This Inner Loop Header: Depth=3
	s_wait_xcnt 0x0
	s_add_nc_u64 s[30:31], s[20:21], s[22:23]
	s_add_nc_u64 s[22:23], s[22:23], 1
	global_load_u8 v0, v1, s[30:31]
	s_cmp_lg_u32 s29, s22
	s_wait_loadcnt 0x0
	v_and_b32_e32 v0, 0xffff, v0
	s_delay_alu instid0(VALU_DEP_1) | instskip(SKIP_1) | instid1(VALU_DEP_1)
	v_lshlrev_b64_e32 v[26:27], s2, v[0:1]
	s_add_nc_u64 s[2:3], s[2:3], 8
	v_or_b32_e32 v24, v26, v24
	s_delay_alu instid0(VALU_DEP_2)
	v_or_b32_e32 v25, v27, v25
	s_cbranch_scc1 .LBB5_660
.LBB5_661:                              ;   in Loop: Header=BB5_643 Depth=2
	s_wait_xcnt 0x0
	s_mov_b64 s[2:3], s[20:21]
	s_mov_b32 s28, 0
	s_cbranch_execz .LBB5_663
	s_branch .LBB5_664
.LBB5_662:                              ;   in Loop: Header=BB5_643 Depth=2
	s_wait_xcnt 0x0
	s_add_nc_u64 s[2:3], s[20:21], 8
	s_mov_b32 s28, 0
.LBB5_663:                              ;   in Loop: Header=BB5_643 Depth=2
	global_load_b64 v[24:25], v1, s[20:21]
	s_add_co_i32 s28, s29, -8
.LBB5_664:                              ;   in Loop: Header=BB5_643 Depth=2
	s_delay_alu instid0(SALU_CYCLE_1)
	s_cmp_gt_u32 s28, 7
	s_cbranch_scc1 .LBB5_669
; %bb.665:                              ;   in Loop: Header=BB5_643 Depth=2
	v_mov_b64_e32 v[26:27], 0
	s_cmp_eq_u32 s28, 0
	s_cbranch_scc1 .LBB5_668
; %bb.666:                              ;   in Loop: Header=BB5_643 Depth=2
	s_wait_xcnt 0x0
	s_mov_b64 s[20:21], 0
	s_mov_b64 s[22:23], 0
.LBB5_667:                              ;   Parent Loop BB5_3 Depth=1
                                        ;     Parent Loop BB5_643 Depth=2
                                        ; =>    This Inner Loop Header: Depth=3
	s_wait_xcnt 0x0
	s_add_nc_u64 s[30:31], s[2:3], s[22:23]
	s_add_nc_u64 s[22:23], s[22:23], 1
	global_load_u8 v0, v1, s[30:31]
	s_cmp_lg_u32 s28, s22
	s_wait_loadcnt 0x0
	v_and_b32_e32 v0, 0xffff, v0
	s_delay_alu instid0(VALU_DEP_1) | instskip(SKIP_1) | instid1(VALU_DEP_1)
	v_lshlrev_b64_e32 v[28:29], s20, v[0:1]
	s_add_nc_u64 s[20:21], s[20:21], 8
	v_or_b32_e32 v26, v28, v26
	s_delay_alu instid0(VALU_DEP_2)
	v_or_b32_e32 v27, v29, v27
	s_cbranch_scc1 .LBB5_667
.LBB5_668:                              ;   in Loop: Header=BB5_643 Depth=2
	s_wait_xcnt 0x0
	s_mov_b64 s[20:21], s[2:3]
	s_mov_b32 s29, 0
	s_cbranch_execz .LBB5_670
	s_branch .LBB5_671
.LBB5_669:                              ;   in Loop: Header=BB5_643 Depth=2
	s_wait_xcnt 0x0
	s_add_nc_u64 s[20:21], s[2:3], 8
                                        ; implicit-def: $vgpr26_vgpr27
	s_mov_b32 s29, 0
.LBB5_670:                              ;   in Loop: Header=BB5_643 Depth=2
	global_load_b64 v[26:27], v1, s[2:3]
	s_add_co_i32 s29, s28, -8
.LBB5_671:                              ;   in Loop: Header=BB5_643 Depth=2
	s_delay_alu instid0(SALU_CYCLE_1)
	s_cmp_gt_u32 s29, 7
	s_cbranch_scc1 .LBB5_676
; %bb.672:                              ;   in Loop: Header=BB5_643 Depth=2
	v_mov_b64_e32 v[28:29], 0
	s_cmp_eq_u32 s29, 0
	s_cbranch_scc1 .LBB5_675
; %bb.673:                              ;   in Loop: Header=BB5_643 Depth=2
	s_wait_xcnt 0x0
	s_mov_b64 s[2:3], 0
	s_mov_b64 s[22:23], 0
.LBB5_674:                              ;   Parent Loop BB5_3 Depth=1
                                        ;     Parent Loop BB5_643 Depth=2
                                        ; =>    This Inner Loop Header: Depth=3
	s_wait_xcnt 0x0
	s_add_nc_u64 s[30:31], s[20:21], s[22:23]
	s_add_nc_u64 s[22:23], s[22:23], 1
	global_load_u8 v0, v1, s[30:31]
	s_cmp_lg_u32 s29, s22
	s_wait_loadcnt 0x0
	v_and_b32_e32 v0, 0xffff, v0
	s_delay_alu instid0(VALU_DEP_1) | instskip(SKIP_1) | instid1(VALU_DEP_1)
	v_lshlrev_b64_e32 v[30:31], s2, v[0:1]
	s_add_nc_u64 s[2:3], s[2:3], 8
	v_or_b32_e32 v28, v30, v28
	s_delay_alu instid0(VALU_DEP_2)
	v_or_b32_e32 v29, v31, v29
	s_cbranch_scc1 .LBB5_674
.LBB5_675:                              ;   in Loop: Header=BB5_643 Depth=2
	s_wait_xcnt 0x0
	s_mov_b64 s[2:3], s[20:21]
	s_mov_b32 s28, 0
	s_cbranch_execz .LBB5_677
	s_branch .LBB5_678
.LBB5_676:                              ;   in Loop: Header=BB5_643 Depth=2
	s_wait_xcnt 0x0
	s_add_nc_u64 s[2:3], s[20:21], 8
	s_mov_b32 s28, 0
.LBB5_677:                              ;   in Loop: Header=BB5_643 Depth=2
	global_load_b64 v[28:29], v1, s[20:21]
	s_add_co_i32 s28, s29, -8
.LBB5_678:                              ;   in Loop: Header=BB5_643 Depth=2
	s_delay_alu instid0(SALU_CYCLE_1)
	s_cmp_gt_u32 s28, 7
	s_cbranch_scc1 .LBB5_683
; %bb.679:                              ;   in Loop: Header=BB5_643 Depth=2
	v_mov_b64_e32 v[30:31], 0
	s_cmp_eq_u32 s28, 0
	s_cbranch_scc1 .LBB5_682
; %bb.680:                              ;   in Loop: Header=BB5_643 Depth=2
	s_wait_xcnt 0x0
	s_mov_b64 s[20:21], 0
	s_mov_b64 s[22:23], 0
.LBB5_681:                              ;   Parent Loop BB5_3 Depth=1
                                        ;     Parent Loop BB5_643 Depth=2
                                        ; =>    This Inner Loop Header: Depth=3
	s_wait_xcnt 0x0
	s_add_nc_u64 s[30:31], s[2:3], s[22:23]
	s_add_nc_u64 s[22:23], s[22:23], 1
	global_load_u8 v0, v1, s[30:31]
	s_cmp_lg_u32 s28, s22
	s_wait_loadcnt 0x0
	v_and_b32_e32 v0, 0xffff, v0
	s_delay_alu instid0(VALU_DEP_1) | instskip(SKIP_1) | instid1(VALU_DEP_1)
	v_lshlrev_b64_e32 v[32:33], s20, v[0:1]
	s_add_nc_u64 s[20:21], s[20:21], 8
	v_or_b32_e32 v30, v32, v30
	s_delay_alu instid0(VALU_DEP_2)
	v_or_b32_e32 v31, v33, v31
	s_cbranch_scc1 .LBB5_681
.LBB5_682:                              ;   in Loop: Header=BB5_643 Depth=2
	s_wait_xcnt 0x0
	s_mov_b64 s[20:21], s[2:3]
	s_mov_b32 s29, 0
	s_cbranch_execz .LBB5_684
	s_branch .LBB5_685
.LBB5_683:                              ;   in Loop: Header=BB5_643 Depth=2
	s_wait_xcnt 0x0
	s_add_nc_u64 s[20:21], s[2:3], 8
                                        ; implicit-def: $vgpr30_vgpr31
	s_mov_b32 s29, 0
.LBB5_684:                              ;   in Loop: Header=BB5_643 Depth=2
	global_load_b64 v[30:31], v1, s[2:3]
	s_add_co_i32 s29, s28, -8
.LBB5_685:                              ;   in Loop: Header=BB5_643 Depth=2
	s_delay_alu instid0(SALU_CYCLE_1)
	s_cmp_gt_u32 s29, 7
	s_cbranch_scc1 .LBB5_690
; %bb.686:                              ;   in Loop: Header=BB5_643 Depth=2
	v_mov_b64_e32 v[32:33], 0
	s_cmp_eq_u32 s29, 0
	s_cbranch_scc1 .LBB5_689
; %bb.687:                              ;   in Loop: Header=BB5_643 Depth=2
	s_wait_xcnt 0x0
	s_mov_b64 s[2:3], 0
	s_mov_b64 s[22:23], s[20:21]
.LBB5_688:                              ;   Parent Loop BB5_3 Depth=1
                                        ;     Parent Loop BB5_643 Depth=2
                                        ; =>    This Inner Loop Header: Depth=3
	global_load_u8 v0, v1, s[22:23]
	s_add_co_i32 s29, s29, -1
	s_wait_xcnt 0x0
	s_add_nc_u64 s[22:23], s[22:23], 1
	s_cmp_lg_u32 s29, 0
	s_wait_loadcnt 0x0
	v_and_b32_e32 v0, 0xffff, v0
	s_delay_alu instid0(VALU_DEP_1) | instskip(SKIP_1) | instid1(VALU_DEP_1)
	v_lshlrev_b64_e32 v[34:35], s2, v[0:1]
	s_add_nc_u64 s[2:3], s[2:3], 8
	v_or_b32_e32 v32, v34, v32
	s_delay_alu instid0(VALU_DEP_2)
	v_or_b32_e32 v33, v35, v33
	s_cbranch_scc1 .LBB5_688
.LBB5_689:                              ;   in Loop: Header=BB5_643 Depth=2
	s_wait_xcnt 0x0
	s_cbranch_execz .LBB5_691
	s_branch .LBB5_692
.LBB5_690:                              ;   in Loop: Header=BB5_643 Depth=2
	s_wait_xcnt 0x0
.LBB5_691:                              ;   in Loop: Header=BB5_643 Depth=2
	global_load_b64 v[32:33], v1, s[20:21]
.LBB5_692:                              ;   in Loop: Header=BB5_643 Depth=2
	v_readfirstlane_b32 s2, v38
	v_mov_b64_e32 v[54:55], 0
	s_delay_alu instid0(VALU_DEP_2)
	v_cmp_eq_u32_e64 s2, s2, v38
	s_wait_xcnt 0x0
	s_and_saveexec_b32 s3, s2
	s_cbranch_execz .LBB5_698
; %bb.693:                              ;   in Loop: Header=BB5_643 Depth=2
	global_load_b64 v[36:37], v1, s[12:13] offset:24 scope:SCOPE_SYS
	s_wait_loadcnt 0x0
	global_inv scope:SCOPE_SYS
	s_clause 0x1
	global_load_b64 v[34:35], v1, s[12:13] offset:40
	global_load_b64 v[54:55], v1, s[12:13]
	s_mov_b32 s20, exec_lo
	s_wait_loadcnt 0x1
	v_and_b32_e32 v34, v34, v36
	v_and_b32_e32 v35, v35, v37
	s_delay_alu instid0(VALU_DEP_1) | instskip(SKIP_1) | instid1(VALU_DEP_1)
	v_mul_u64_e32 v[34:35], 24, v[34:35]
	s_wait_loadcnt 0x0
	v_add_nc_u64_e32 v[34:35], v[54:55], v[34:35]
	global_load_b64 v[34:35], v[34:35], off scope:SCOPE_SYS
	s_wait_xcnt 0x0
	s_wait_loadcnt 0x0
	global_atomic_cmpswap_b64 v[54:55], v1, v[34:37], s[12:13] offset:24 th:TH_ATOMIC_RETURN scope:SCOPE_SYS
	s_wait_loadcnt 0x0
	global_inv scope:SCOPE_SYS
	s_wait_xcnt 0x0
	v_cmpx_ne_u64_e64 v[54:55], v[36:37]
	s_cbranch_execz .LBB5_697
; %bb.694:                              ;   in Loop: Header=BB5_643 Depth=2
	s_mov_b32 s21, 0
.LBB5_695:                              ;   Parent Loop BB5_3 Depth=1
                                        ;     Parent Loop BB5_643 Depth=2
                                        ; =>    This Inner Loop Header: Depth=3
	s_sleep 1
	s_clause 0x1
	global_load_b64 v[34:35], v1, s[12:13] offset:40
	global_load_b64 v[56:57], v1, s[12:13]
	v_mov_b64_e32 v[36:37], v[54:55]
	s_wait_loadcnt 0x1
	s_delay_alu instid0(VALU_DEP_1) | instskip(SKIP_1) | instid1(VALU_DEP_1)
	v_and_b32_e32 v0, v34, v36
	s_wait_loadcnt 0x0
	v_mad_nc_u64_u32 v[54:55], v0, 24, v[56:57]
	s_delay_alu instid0(VALU_DEP_3) | instskip(NEXT) | instid1(VALU_DEP_1)
	v_and_b32_e32 v0, v35, v37
	v_mad_u32 v55, v0, 24, v55
	global_load_b64 v[34:35], v[54:55], off scope:SCOPE_SYS
	s_wait_xcnt 0x0
	s_wait_loadcnt 0x0
	global_atomic_cmpswap_b64 v[54:55], v1, v[34:37], s[12:13] offset:24 th:TH_ATOMIC_RETURN scope:SCOPE_SYS
	s_wait_loadcnt 0x0
	global_inv scope:SCOPE_SYS
	v_cmp_eq_u64_e32 vcc_lo, v[54:55], v[36:37]
	s_or_b32 s21, vcc_lo, s21
	s_wait_xcnt 0x0
	s_and_not1_b32 exec_lo, exec_lo, s21
	s_cbranch_execnz .LBB5_695
; %bb.696:                              ;   in Loop: Header=BB5_643 Depth=2
	s_or_b32 exec_lo, exec_lo, s21
.LBB5_697:                              ;   in Loop: Header=BB5_643 Depth=2
	s_delay_alu instid0(SALU_CYCLE_1)
	s_or_b32 exec_lo, exec_lo, s20
.LBB5_698:                              ;   in Loop: Header=BB5_643 Depth=2
	s_delay_alu instid0(SALU_CYCLE_1)
	s_or_b32 exec_lo, exec_lo, s3
	s_clause 0x1
	global_load_b64 v[56:57], v1, s[12:13] offset:40
	global_load_b128 v[34:37], v1, s[12:13]
	v_readfirstlane_b32 s20, v54
	v_readfirstlane_b32 s21, v55
	s_mov_b32 s3, exec_lo
	s_wait_loadcnt 0x1
	v_and_b32_e32 v56, s20, v56
	v_and_b32_e32 v57, s21, v57
	s_delay_alu instid0(VALU_DEP_1) | instskip(SKIP_1) | instid1(VALU_DEP_1)
	v_mul_u64_e32 v[54:55], 24, v[56:57]
	s_wait_loadcnt 0x0
	v_add_nc_u64_e32 v[54:55], v[34:35], v[54:55]
	s_wait_xcnt 0x0
	s_and_saveexec_b32 s22, s2
	s_cbranch_execz .LBB5_700
; %bb.699:                              ;   in Loop: Header=BB5_643 Depth=2
	v_mov_b32_e32 v0, s3
	global_store_b128 v[54:55], v[0:3], off offset:8
.LBB5_700:                              ;   in Loop: Header=BB5_643 Depth=2
	s_wait_xcnt 0x0
	s_or_b32 exec_lo, exec_lo, s22
	v_cmp_lt_u64_e64 vcc_lo, s[16:17], 57
	v_lshlrev_b64_e32 v[56:57], 12, v[56:57]
	v_and_b32_e32 v5, 0xffffff1f, v18
	s_lshl_b32 s3, s18, 2
	s_delay_alu instid0(SALU_CYCLE_1) | instskip(SKIP_1) | instid1(VALU_DEP_3)
	s_add_co_i32 s3, s3, 28
	v_cndmask_b32_e32 v0, 0, v6, vcc_lo
	v_add_nc_u64_e32 v[36:37], v[36:37], v[56:57]
	s_delay_alu instid0(VALU_DEP_2) | instskip(NEXT) | instid1(VALU_DEP_2)
	v_or_b32_e32 v0, v5, v0
	v_readfirstlane_b32 s22, v36
	s_delay_alu instid0(VALU_DEP_3) | instskip(NEXT) | instid1(VALU_DEP_3)
	v_readfirstlane_b32 s23, v37
	v_and_or_b32 v18, 0x1e0, s3, v0
	s_clause 0x3
	global_store_b128 v46, v[18:21], s[22:23]
	global_store_b128 v46, v[22:25], s[22:23] offset:16
	global_store_b128 v46, v[26:29], s[22:23] offset:32
	;; [unrolled: 1-line block ×3, first 2 shown]
	s_wait_xcnt 0x0
	s_and_saveexec_b32 s3, s2
	s_cbranch_execz .LBB5_708
; %bb.701:                              ;   in Loop: Header=BB5_643 Depth=2
	s_clause 0x1
	global_load_b64 v[26:27], v1, s[12:13] offset:32 scope:SCOPE_SYS
	global_load_b64 v[18:19], v1, s[12:13] offset:40
	s_mov_b32 s22, exec_lo
	v_dual_mov_b32 v24, s20 :: v_dual_mov_b32 v25, s21
	s_wait_loadcnt 0x0
	v_and_b32_e32 v19, s21, v19
	v_and_b32_e32 v18, s20, v18
	s_delay_alu instid0(VALU_DEP_1) | instskip(NEXT) | instid1(VALU_DEP_1)
	v_mul_u64_e32 v[18:19], 24, v[18:19]
	v_add_nc_u64_e32 v[22:23], v[34:35], v[18:19]
	global_store_b64 v[22:23], v[26:27], off
	global_wb scope:SCOPE_SYS
	s_wait_storecnt 0x0
	s_wait_xcnt 0x0
	global_atomic_cmpswap_b64 v[20:21], v1, v[24:27], s[12:13] offset:32 th:TH_ATOMIC_RETURN scope:SCOPE_SYS
	s_wait_loadcnt 0x0
	v_cmpx_ne_u64_e64 v[20:21], v[26:27]
	s_cbranch_execz .LBB5_704
; %bb.702:                              ;   in Loop: Header=BB5_643 Depth=2
	s_mov_b32 s23, 0
.LBB5_703:                              ;   Parent Loop BB5_3 Depth=1
                                        ;     Parent Loop BB5_643 Depth=2
                                        ; =>    This Inner Loop Header: Depth=3
	v_dual_mov_b32 v18, s20 :: v_dual_mov_b32 v19, s21
	s_sleep 1
	global_store_b64 v[22:23], v[20:21], off
	global_wb scope:SCOPE_SYS
	s_wait_storecnt 0x0
	s_wait_xcnt 0x0
	global_atomic_cmpswap_b64 v[18:19], v1, v[18:21], s[12:13] offset:32 th:TH_ATOMIC_RETURN scope:SCOPE_SYS
	s_wait_loadcnt 0x0
	v_cmp_eq_u64_e32 vcc_lo, v[18:19], v[20:21]
	v_mov_b64_e32 v[20:21], v[18:19]
	s_or_b32 s23, vcc_lo, s23
	s_delay_alu instid0(SALU_CYCLE_1)
	s_and_not1_b32 exec_lo, exec_lo, s23
	s_cbranch_execnz .LBB5_703
.LBB5_704:                              ;   in Loop: Header=BB5_643 Depth=2
	s_or_b32 exec_lo, exec_lo, s22
	global_load_b64 v[18:19], v1, s[12:13] offset:16
	s_mov_b32 s23, exec_lo
	s_mov_b32 s22, exec_lo
	v_mbcnt_lo_u32_b32 v0, s23, 0
	s_wait_xcnt 0x0
	s_delay_alu instid0(VALU_DEP_1)
	v_cmpx_eq_u32_e32 0, v0
	s_cbranch_execz .LBB5_706
; %bb.705:                              ;   in Loop: Header=BB5_643 Depth=2
	s_bcnt1_i32_b32 s23, s23
	s_delay_alu instid0(SALU_CYCLE_1)
	v_mov_b32_e32 v0, s23
	global_wb scope:SCOPE_SYS
	s_wait_loadcnt 0x0
	s_wait_storecnt 0x0
	global_atomic_add_u64 v[18:19], v[0:1], off offset:8 scope:SCOPE_SYS
.LBB5_706:                              ;   in Loop: Header=BB5_643 Depth=2
	s_wait_xcnt 0x0
	s_or_b32 exec_lo, exec_lo, s22
	s_wait_loadcnt 0x0
	global_load_b64 v[20:21], v[18:19], off offset:16
	s_wait_loadcnt 0x0
	v_cmp_eq_u64_e32 vcc_lo, 0, v[20:21]
	s_cbranch_vccnz .LBB5_708
; %bb.707:                              ;   in Loop: Header=BB5_643 Depth=2
	global_load_b32 v0, v[18:19], off offset:24
	s_wait_loadcnt 0x0
	v_readfirstlane_b32 s22, v0
	global_wb scope:SCOPE_SYS
	s_wait_storecnt 0x0
	s_wait_xcnt 0x0
	global_store_b64 v[20:21], v[0:1], off scope:SCOPE_SYS
	s_and_b32 m0, s22, 0xffffff
	s_sendmsg sendmsg(MSG_INTERRUPT)
.LBB5_708:                              ;   in Loop: Header=BB5_643 Depth=2
	s_wait_xcnt 0x0
	s_or_b32 exec_lo, exec_lo, s3
	v_mov_b32_e32 v47, v1
	s_delay_alu instid0(VALU_DEP_1)
	v_add_nc_u64_e32 v[18:19], v[36:37], v[46:47]
	s_branch .LBB5_712
.LBB5_709:                              ;   in Loop: Header=BB5_712 Depth=3
	s_wait_xcnt 0x0
	s_or_b32 exec_lo, exec_lo, s3
	s_delay_alu instid0(VALU_DEP_1)
	v_readfirstlane_b32 s3, v0
	s_cmp_eq_u32 s3, 0
	s_cbranch_scc1 .LBB5_711
; %bb.710:                              ;   in Loop: Header=BB5_712 Depth=3
	s_sleep 1
	s_cbranch_execnz .LBB5_712
	s_branch .LBB5_714
.LBB5_711:                              ;   in Loop: Header=BB5_643 Depth=2
	s_branch .LBB5_714
.LBB5_712:                              ;   Parent Loop BB5_3 Depth=1
                                        ;     Parent Loop BB5_643 Depth=2
                                        ; =>    This Inner Loop Header: Depth=3
	v_mov_b32_e32 v0, 1
	s_and_saveexec_b32 s3, s2
	s_cbranch_execz .LBB5_709
; %bb.713:                              ;   in Loop: Header=BB5_712 Depth=3
	global_load_b32 v0, v[54:55], off offset:20 scope:SCOPE_SYS
	s_wait_loadcnt 0x0
	global_inv scope:SCOPE_SYS
	v_and_b32_e32 v0, 1, v0
	s_branch .LBB5_709
.LBB5_714:                              ;   in Loop: Header=BB5_643 Depth=2
	global_load_b64 v[18:19], v[18:19], off
	s_wait_xcnt 0x0
	s_and_saveexec_b32 s22, s2
	s_cbranch_execz .LBB5_642
; %bb.715:                              ;   in Loop: Header=BB5_643 Depth=2
	s_clause 0x2
	global_load_b64 v[20:21], v1, s[12:13] offset:40
	global_load_b64 v[28:29], v1, s[12:13] offset:24 scope:SCOPE_SYS
	global_load_b64 v[22:23], v1, s[12:13]
	s_wait_loadcnt 0x2
	v_readfirstlane_b32 s28, v20
	v_readfirstlane_b32 s29, v21
	s_add_nc_u64 s[2:3], s[28:29], 1
	s_delay_alu instid0(SALU_CYCLE_1) | instskip(NEXT) | instid1(SALU_CYCLE_1)
	s_add_nc_u64 s[20:21], s[2:3], s[20:21]
	s_cmp_eq_u64 s[20:21], 0
	s_cselect_b32 s3, s3, s21
	s_cselect_b32 s2, s2, s20
	s_delay_alu instid0(SALU_CYCLE_1) | instskip(SKIP_1) | instid1(SALU_CYCLE_1)
	v_dual_mov_b32 v27, s3 :: v_dual_mov_b32 v26, s2
	s_and_b64 s[20:21], s[2:3], s[28:29]
	s_mul_u64 s[20:21], s[20:21], 24
	s_wait_loadcnt 0x0
	v_add_nc_u64_e32 v[24:25], s[20:21], v[22:23]
	global_store_b64 v[24:25], v[28:29], off
	global_wb scope:SCOPE_SYS
	s_wait_storecnt 0x0
	s_wait_xcnt 0x0
	global_atomic_cmpswap_b64 v[22:23], v1, v[26:29], s[12:13] offset:24 th:TH_ATOMIC_RETURN scope:SCOPE_SYS
	s_wait_loadcnt 0x0
	v_cmp_ne_u64_e32 vcc_lo, v[22:23], v[28:29]
	s_and_b32 exec_lo, exec_lo, vcc_lo
	s_cbranch_execz .LBB5_642
; %bb.716:                              ;   in Loop: Header=BB5_643 Depth=2
	s_mov_b32 s20, 0
.LBB5_717:                              ;   Parent Loop BB5_3 Depth=1
                                        ;     Parent Loop BB5_643 Depth=2
                                        ; =>    This Inner Loop Header: Depth=3
	v_dual_mov_b32 v20, s2 :: v_dual_mov_b32 v21, s3
	s_sleep 1
	global_store_b64 v[24:25], v[22:23], off
	global_wb scope:SCOPE_SYS
	s_wait_storecnt 0x0
	s_wait_xcnt 0x0
	global_atomic_cmpswap_b64 v[20:21], v1, v[20:23], s[12:13] offset:24 th:TH_ATOMIC_RETURN scope:SCOPE_SYS
	s_wait_loadcnt 0x0
	v_cmp_eq_u64_e32 vcc_lo, v[20:21], v[22:23]
	v_mov_b64_e32 v[22:23], v[20:21]
	s_or_b32 s20, vcc_lo, s20
	s_delay_alu instid0(SALU_CYCLE_1)
	s_and_not1_b32 exec_lo, exec_lo, s20
	s_cbranch_execnz .LBB5_717
	s_branch .LBB5_642
.LBB5_718:                              ;   in Loop: Header=BB5_3 Depth=1
	s_branch .LBB5_775
.LBB5_719:                              ;   in Loop: Header=BB5_3 Depth=1
                                        ; implicit-def: $vgpr16_vgpr17
	s_cbranch_execz .LBB5_640
; %bb.720:                              ;   in Loop: Header=BB5_3 Depth=1
	v_readfirstlane_b32 s2, v38
	v_mov_b64_e32 v[6:7], 0
	s_delay_alu instid0(VALU_DEP_2)
	v_cmp_eq_u32_e64 s2, s2, v38
	s_and_saveexec_b32 s3, s2
	s_cbranch_execz .LBB5_726
; %bb.721:                              ;   in Loop: Header=BB5_3 Depth=1
	global_load_b64 v[18:19], v1, s[12:13] offset:24 scope:SCOPE_SYS
	s_wait_loadcnt 0x0
	global_inv scope:SCOPE_SYS
	s_clause 0x1
	global_load_b64 v[6:7], v1, s[12:13] offset:40
	global_load_b64 v[16:17], v1, s[12:13]
	s_mov_b32 s14, exec_lo
	s_wait_loadcnt 0x1
	v_and_b32_e32 v6, v6, v18
	v_and_b32_e32 v7, v7, v19
	s_delay_alu instid0(VALU_DEP_1) | instskip(SKIP_1) | instid1(VALU_DEP_1)
	v_mul_u64_e32 v[6:7], 24, v[6:7]
	s_wait_loadcnt 0x0
	v_add_nc_u64_e32 v[6:7], v[16:17], v[6:7]
	global_load_b64 v[16:17], v[6:7], off scope:SCOPE_SYS
	s_wait_xcnt 0x0
	s_wait_loadcnt 0x0
	global_atomic_cmpswap_b64 v[6:7], v1, v[16:19], s[12:13] offset:24 th:TH_ATOMIC_RETURN scope:SCOPE_SYS
	s_wait_loadcnt 0x0
	global_inv scope:SCOPE_SYS
	s_wait_xcnt 0x0
	v_cmpx_ne_u64_e64 v[6:7], v[18:19]
	s_cbranch_execz .LBB5_725
; %bb.722:                              ;   in Loop: Header=BB5_3 Depth=1
	s_mov_b32 s15, 0
.LBB5_723:                              ;   Parent Loop BB5_3 Depth=1
                                        ; =>  This Inner Loop Header: Depth=2
	s_sleep 1
	s_clause 0x1
	global_load_b64 v[16:17], v1, s[12:13] offset:40
	global_load_b64 v[22:23], v1, s[12:13]
	v_mov_b64_e32 v[18:19], v[6:7]
	s_wait_loadcnt 0x1
	s_delay_alu instid0(VALU_DEP_1) | instskip(SKIP_1) | instid1(VALU_DEP_1)
	v_and_b32_e32 v0, v16, v18
	s_wait_loadcnt 0x0
	v_mad_nc_u64_u32 v[6:7], v0, 24, v[22:23]
	s_delay_alu instid0(VALU_DEP_3) | instskip(NEXT) | instid1(VALU_DEP_1)
	v_and_b32_e32 v0, v17, v19
	v_mad_u32 v7, v0, 24, v7
	global_load_b64 v[16:17], v[6:7], off scope:SCOPE_SYS
	s_wait_xcnt 0x0
	s_wait_loadcnt 0x0
	global_atomic_cmpswap_b64 v[6:7], v1, v[16:19], s[12:13] offset:24 th:TH_ATOMIC_RETURN scope:SCOPE_SYS
	s_wait_loadcnt 0x0
	global_inv scope:SCOPE_SYS
	v_cmp_eq_u64_e32 vcc_lo, v[6:7], v[18:19]
	s_or_b32 s15, vcc_lo, s15
	s_wait_xcnt 0x0
	s_and_not1_b32 exec_lo, exec_lo, s15
	s_cbranch_execnz .LBB5_723
; %bb.724:                              ;   in Loop: Header=BB5_3 Depth=1
	s_or_b32 exec_lo, exec_lo, s15
.LBB5_725:                              ;   in Loop: Header=BB5_3 Depth=1
	s_delay_alu instid0(SALU_CYCLE_1)
	s_or_b32 exec_lo, exec_lo, s14
.LBB5_726:                              ;   in Loop: Header=BB5_3 Depth=1
	s_delay_alu instid0(SALU_CYCLE_1)
	s_or_b32 exec_lo, exec_lo, s3
	global_load_b64 v[22:23], v1, s[12:13] offset:40
	s_wait_loadcnt 0x1
	global_load_b128 v[16:19], v1, s[12:13]
	v_readfirstlane_b32 s14, v6
	v_readfirstlane_b32 s15, v7
	s_mov_b32 s3, exec_lo
	s_wait_loadcnt 0x1
	v_and_b32_e32 v22, s14, v22
	v_and_b32_e32 v23, s15, v23
	s_delay_alu instid0(VALU_DEP_1) | instskip(SKIP_1) | instid1(VALU_DEP_1)
	v_mul_u64_e32 v[6:7], 24, v[22:23]
	s_wait_loadcnt 0x0
	v_add_nc_u64_e32 v[6:7], v[16:17], v[6:7]
	s_wait_xcnt 0x0
	s_and_saveexec_b32 s16, s2
	s_cbranch_execz .LBB5_728
; %bb.727:                              ;   in Loop: Header=BB5_3 Depth=1
	v_mov_b32_e32 v0, s3
	global_store_b128 v[6:7], v[0:3], off offset:8
.LBB5_728:                              ;   in Loop: Header=BB5_3 Depth=1
	s_wait_xcnt 0x0
	s_or_b32 exec_lo, exec_lo, s16
	v_lshlrev_b64_e32 v[22:23], 12, v[22:23]
	v_mov_b64_e32 v[28:29], s[6:7]
	v_mov_b64_e32 v[26:27], s[4:5]
	v_and_or_b32 v20, 0xffffff1f, v20, 32
	s_delay_alu instid0(VALU_DEP_4) | instskip(SKIP_1) | instid1(VALU_DEP_2)
	v_add_nc_u64_e32 v[24:25], v[18:19], v[22:23]
	v_dual_mov_b32 v22, v1 :: v_dual_mov_b32 v23, v1
	v_readfirstlane_b32 s16, v24
	s_delay_alu instid0(VALU_DEP_3)
	v_readfirstlane_b32 s17, v25
	s_clause 0x3
	global_store_b128 v46, v[20:23], s[16:17]
	global_store_b128 v46, v[26:29], s[16:17] offset:16
	global_store_b128 v46, v[26:29], s[16:17] offset:32
	;; [unrolled: 1-line block ×3, first 2 shown]
	s_wait_xcnt 0x0
	s_and_saveexec_b32 s3, s2
	s_cbranch_execz .LBB5_736
; %bb.729:                              ;   in Loop: Header=BB5_3 Depth=1
	s_clause 0x1
	global_load_b64 v[28:29], v1, s[12:13] offset:32 scope:SCOPE_SYS
	global_load_b64 v[18:19], v1, s[12:13] offset:40
	s_mov_b32 s16, exec_lo
	v_dual_mov_b32 v26, s14 :: v_dual_mov_b32 v27, s15
	s_wait_loadcnt 0x0
	v_and_b32_e32 v19, s15, v19
	v_and_b32_e32 v18, s14, v18
	s_delay_alu instid0(VALU_DEP_1) | instskip(NEXT) | instid1(VALU_DEP_1)
	v_mul_u64_e32 v[18:19], 24, v[18:19]
	v_add_nc_u64_e32 v[20:21], v[16:17], v[18:19]
	global_store_b64 v[20:21], v[28:29], off
	global_wb scope:SCOPE_SYS
	s_wait_storecnt 0x0
	s_wait_xcnt 0x0
	global_atomic_cmpswap_b64 v[18:19], v1, v[26:29], s[12:13] offset:32 th:TH_ATOMIC_RETURN scope:SCOPE_SYS
	s_wait_loadcnt 0x0
	s_wait_xcnt 0x0
	v_cmpx_ne_u64_e64 v[18:19], v[28:29]
	s_cbranch_execz .LBB5_732
; %bb.730:                              ;   in Loop: Header=BB5_3 Depth=1
	s_mov_b32 s17, 0
.LBB5_731:                              ;   Parent Loop BB5_3 Depth=1
                                        ; =>  This Inner Loop Header: Depth=2
	v_dual_mov_b32 v16, s14 :: v_dual_mov_b32 v17, s15
	s_sleep 1
	global_store_b64 v[20:21], v[18:19], off
	global_wb scope:SCOPE_SYS
	s_wait_storecnt 0x0
	s_wait_xcnt 0x0
	global_atomic_cmpswap_b64 v[16:17], v1, v[16:19], s[12:13] offset:32 th:TH_ATOMIC_RETURN scope:SCOPE_SYS
	s_wait_loadcnt 0x0
	v_cmp_eq_u64_e32 vcc_lo, v[16:17], v[18:19]
	s_wait_xcnt 0x0
	v_mov_b64_e32 v[18:19], v[16:17]
	s_or_b32 s17, vcc_lo, s17
	s_delay_alu instid0(SALU_CYCLE_1)
	s_and_not1_b32 exec_lo, exec_lo, s17
	s_cbranch_execnz .LBB5_731
.LBB5_732:                              ;   in Loop: Header=BB5_3 Depth=1
	s_or_b32 exec_lo, exec_lo, s16
	global_load_b64 v[16:17], v1, s[12:13] offset:16
	s_mov_b32 s17, exec_lo
	s_mov_b32 s16, exec_lo
	v_mbcnt_lo_u32_b32 v0, s17, 0
	s_wait_xcnt 0x0
	s_delay_alu instid0(VALU_DEP_1)
	v_cmpx_eq_u32_e32 0, v0
	s_cbranch_execz .LBB5_734
; %bb.733:                              ;   in Loop: Header=BB5_3 Depth=1
	s_bcnt1_i32_b32 s17, s17
	s_delay_alu instid0(SALU_CYCLE_1)
	v_mov_b32_e32 v0, s17
	global_wb scope:SCOPE_SYS
	s_wait_loadcnt 0x0
	s_wait_storecnt 0x0
	global_atomic_add_u64 v[16:17], v[0:1], off offset:8 scope:SCOPE_SYS
.LBB5_734:                              ;   in Loop: Header=BB5_3 Depth=1
	s_wait_xcnt 0x0
	s_or_b32 exec_lo, exec_lo, s16
	s_wait_loadcnt 0x0
	global_load_b64 v[18:19], v[16:17], off offset:16
	s_wait_loadcnt 0x0
	v_cmp_eq_u64_e32 vcc_lo, 0, v[18:19]
	s_cbranch_vccnz .LBB5_736
; %bb.735:                              ;   in Loop: Header=BB5_3 Depth=1
	global_load_b32 v0, v[16:17], off offset:24
	s_wait_loadcnt 0x0
	v_readfirstlane_b32 s16, v0
	global_wb scope:SCOPE_SYS
	s_wait_storecnt 0x0
	s_wait_xcnt 0x0
	global_store_b64 v[18:19], v[0:1], off scope:SCOPE_SYS
	s_and_b32 m0, s16, 0xffffff
	s_sendmsg sendmsg(MSG_INTERRUPT)
.LBB5_736:                              ;   in Loop: Header=BB5_3 Depth=1
	s_wait_xcnt 0x0
	s_or_b32 exec_lo, exec_lo, s3
	v_mov_b32_e32 v47, v1
	s_delay_alu instid0(VALU_DEP_1)
	v_add_nc_u64_e32 v[16:17], v[24:25], v[46:47]
	s_branch .LBB5_740
.LBB5_737:                              ;   in Loop: Header=BB5_740 Depth=2
	s_wait_xcnt 0x0
	s_or_b32 exec_lo, exec_lo, s3
	s_delay_alu instid0(VALU_DEP_1)
	v_readfirstlane_b32 s3, v0
	s_cmp_eq_u32 s3, 0
	s_cbranch_scc1 .LBB5_739
; %bb.738:                              ;   in Loop: Header=BB5_740 Depth=2
	s_sleep 1
	s_cbranch_execnz .LBB5_740
	s_branch .LBB5_742
.LBB5_739:                              ;   in Loop: Header=BB5_3 Depth=1
	s_branch .LBB5_742
.LBB5_740:                              ;   Parent Loop BB5_3 Depth=1
                                        ; =>  This Inner Loop Header: Depth=2
	v_mov_b32_e32 v0, 1
	s_and_saveexec_b32 s3, s2
	s_cbranch_execz .LBB5_737
; %bb.741:                              ;   in Loop: Header=BB5_740 Depth=2
	global_load_b32 v0, v[6:7], off offset:20 scope:SCOPE_SYS
	s_wait_loadcnt 0x0
	global_inv scope:SCOPE_SYS
	v_and_b32_e32 v0, 1, v0
	s_branch .LBB5_737
.LBB5_742:                              ;   in Loop: Header=BB5_3 Depth=1
	global_load_b64 v[16:17], v[16:17], off
	s_wait_xcnt 0x0
	s_and_saveexec_b32 s16, s2
	s_cbranch_execz .LBB5_746
; %bb.743:                              ;   in Loop: Header=BB5_3 Depth=1
	s_clause 0x2
	global_load_b64 v[6:7], v1, s[12:13] offset:40
	global_load_b64 v[22:23], v1, s[12:13] offset:24 scope:SCOPE_SYS
	global_load_b64 v[18:19], v1, s[12:13]
	s_wait_loadcnt 0x2
	v_readfirstlane_b32 s18, v6
	v_readfirstlane_b32 s19, v7
	s_add_nc_u64 s[2:3], s[18:19], 1
	s_delay_alu instid0(SALU_CYCLE_1) | instskip(NEXT) | instid1(SALU_CYCLE_1)
	s_add_nc_u64 s[14:15], s[2:3], s[14:15]
	s_cmp_eq_u64 s[14:15], 0
	s_cselect_b32 s3, s3, s15
	s_cselect_b32 s2, s2, s14
	s_delay_alu instid0(SALU_CYCLE_1) | instskip(SKIP_1) | instid1(SALU_CYCLE_1)
	v_dual_mov_b32 v21, s3 :: v_dual_mov_b32 v20, s2
	s_and_b64 s[14:15], s[2:3], s[18:19]
	s_mul_u64 s[14:15], s[14:15], 24
	s_wait_loadcnt 0x0
	v_add_nc_u64_e32 v[6:7], s[14:15], v[18:19]
	global_store_b64 v[6:7], v[22:23], off
	global_wb scope:SCOPE_SYS
	s_wait_storecnt 0x0
	s_wait_xcnt 0x0
	global_atomic_cmpswap_b64 v[20:21], v1, v[20:23], s[12:13] offset:24 th:TH_ATOMIC_RETURN scope:SCOPE_SYS
	s_wait_loadcnt 0x0
	v_cmp_ne_u64_e32 vcc_lo, v[20:21], v[22:23]
	s_wait_xcnt 0x0
	s_and_b32 exec_lo, exec_lo, vcc_lo
	s_cbranch_execz .LBB5_746
; %bb.744:                              ;   in Loop: Header=BB5_3 Depth=1
	s_mov_b32 s14, 0
.LBB5_745:                              ;   Parent Loop BB5_3 Depth=1
                                        ; =>  This Inner Loop Header: Depth=2
	v_dual_mov_b32 v18, s2 :: v_dual_mov_b32 v19, s3
	s_sleep 1
	global_store_b64 v[6:7], v[20:21], off
	global_wb scope:SCOPE_SYS
	s_wait_storecnt 0x0
	s_wait_xcnt 0x0
	global_atomic_cmpswap_b64 v[18:19], v1, v[18:21], s[12:13] offset:24 th:TH_ATOMIC_RETURN scope:SCOPE_SYS
	s_wait_loadcnt 0x0
	v_cmp_eq_u64_e32 vcc_lo, v[18:19], v[20:21]
	s_wait_xcnt 0x0
	v_mov_b64_e32 v[20:21], v[18:19]
	s_or_b32 s14, vcc_lo, s14
	s_delay_alu instid0(SALU_CYCLE_1)
	s_and_not1_b32 exec_lo, exec_lo, s14
	s_cbranch_execnz .LBB5_745
.LBB5_746:                              ;   in Loop: Header=BB5_3 Depth=1
	s_or_b32 exec_lo, exec_lo, s16
	s_delay_alu instid0(SALU_CYCLE_1)
	s_and_b32 vcc_lo, exec_lo, s26
	s_cbranch_vccnz .LBB5_641
.LBB5_747:                              ;   in Loop: Header=BB5_3 Depth=1
                                        ; implicit-def: $vgpr18_vgpr19
	s_cbranch_execz .LBB5_775
; %bb.748:                              ;   in Loop: Header=BB5_3 Depth=1
	v_readfirstlane_b32 s2, v38
	v_mov_b64_e32 v[6:7], 0
	s_delay_alu instid0(VALU_DEP_2)
	v_cmp_eq_u32_e64 s2, s2, v38
	s_and_saveexec_b32 s3, s2
	s_cbranch_execz .LBB5_754
; %bb.749:                              ;   in Loop: Header=BB5_3 Depth=1
	s_wait_loadcnt 0x0
	global_load_b64 v[20:21], v1, s[12:13] offset:24 scope:SCOPE_SYS
	s_wait_loadcnt 0x0
	global_inv scope:SCOPE_SYS
	s_clause 0x1
	global_load_b64 v[6:7], v1, s[12:13] offset:40
	global_load_b64 v[18:19], v1, s[12:13]
	s_mov_b32 s14, exec_lo
	s_wait_loadcnt 0x1
	v_and_b32_e32 v6, v6, v20
	v_and_b32_e32 v7, v7, v21
	s_delay_alu instid0(VALU_DEP_1) | instskip(SKIP_1) | instid1(VALU_DEP_1)
	v_mul_u64_e32 v[6:7], 24, v[6:7]
	s_wait_loadcnt 0x0
	v_add_nc_u64_e32 v[6:7], v[18:19], v[6:7]
	global_load_b64 v[18:19], v[6:7], off scope:SCOPE_SYS
	s_wait_xcnt 0x0
	s_wait_loadcnt 0x0
	global_atomic_cmpswap_b64 v[6:7], v1, v[18:21], s[12:13] offset:24 th:TH_ATOMIC_RETURN scope:SCOPE_SYS
	s_wait_loadcnt 0x0
	global_inv scope:SCOPE_SYS
	s_wait_xcnt 0x0
	v_cmpx_ne_u64_e64 v[6:7], v[20:21]
	s_cbranch_execz .LBB5_753
; %bb.750:                              ;   in Loop: Header=BB5_3 Depth=1
	s_mov_b32 s15, 0
.LBB5_751:                              ;   Parent Loop BB5_3 Depth=1
                                        ; =>  This Inner Loop Header: Depth=2
	s_sleep 1
	s_clause 0x1
	global_load_b64 v[18:19], v1, s[12:13] offset:40
	global_load_b64 v[22:23], v1, s[12:13]
	v_mov_b64_e32 v[20:21], v[6:7]
	s_wait_loadcnt 0x1
	s_delay_alu instid0(VALU_DEP_1) | instskip(SKIP_1) | instid1(VALU_DEP_1)
	v_and_b32_e32 v0, v18, v20
	s_wait_loadcnt 0x0
	v_mad_nc_u64_u32 v[6:7], v0, 24, v[22:23]
	s_delay_alu instid0(VALU_DEP_3) | instskip(NEXT) | instid1(VALU_DEP_1)
	v_and_b32_e32 v0, v19, v21
	v_mad_u32 v7, v0, 24, v7
	global_load_b64 v[18:19], v[6:7], off scope:SCOPE_SYS
	s_wait_xcnt 0x0
	s_wait_loadcnt 0x0
	global_atomic_cmpswap_b64 v[6:7], v1, v[18:21], s[12:13] offset:24 th:TH_ATOMIC_RETURN scope:SCOPE_SYS
	s_wait_loadcnt 0x0
	global_inv scope:SCOPE_SYS
	v_cmp_eq_u64_e32 vcc_lo, v[6:7], v[20:21]
	s_or_b32 s15, vcc_lo, s15
	s_wait_xcnt 0x0
	s_and_not1_b32 exec_lo, exec_lo, s15
	s_cbranch_execnz .LBB5_751
; %bb.752:                              ;   in Loop: Header=BB5_3 Depth=1
	s_or_b32 exec_lo, exec_lo, s15
.LBB5_753:                              ;   in Loop: Header=BB5_3 Depth=1
	s_delay_alu instid0(SALU_CYCLE_1)
	s_or_b32 exec_lo, exec_lo, s14
.LBB5_754:                              ;   in Loop: Header=BB5_3 Depth=1
	s_delay_alu instid0(SALU_CYCLE_1)
	s_or_b32 exec_lo, exec_lo, s3
	s_wait_loadcnt 0x0
	s_clause 0x1
	global_load_b64 v[18:19], v1, s[12:13] offset:40
	global_load_b128 v[20:23], v1, s[12:13]
	v_readfirstlane_b32 s14, v6
	v_readfirstlane_b32 s15, v7
	s_mov_b32 s3, exec_lo
	s_wait_loadcnt 0x1
	v_and_b32_e32 v18, s14, v18
	v_and_b32_e32 v19, s15, v19
	s_delay_alu instid0(VALU_DEP_1) | instskip(SKIP_1) | instid1(VALU_DEP_1)
	v_mul_u64_e32 v[6:7], 24, v[18:19]
	s_wait_loadcnt 0x0
	v_add_nc_u64_e32 v[6:7], v[20:21], v[6:7]
	s_wait_xcnt 0x0
	s_and_saveexec_b32 s16, s2
	s_cbranch_execz .LBB5_756
; %bb.755:                              ;   in Loop: Header=BB5_3 Depth=1
	v_mov_b32_e32 v0, s3
	global_store_b128 v[6:7], v[0:3], off offset:8
.LBB5_756:                              ;   in Loop: Header=BB5_3 Depth=1
	s_wait_xcnt 0x0
	s_or_b32 exec_lo, exec_lo, s16
	v_lshlrev_b64_e32 v[18:19], 12, v[18:19]
	v_mov_b64_e32 v[26:27], s[6:7]
	v_mov_b64_e32 v[24:25], s[4:5]
	v_and_or_b32 v16, 0xffffff1f, v16, 32
	s_delay_alu instid0(VALU_DEP_4) | instskip(SKIP_1) | instid1(VALU_DEP_2)
	v_add_nc_u64_e32 v[22:23], v[22:23], v[18:19]
	v_dual_mov_b32 v18, v1 :: v_dual_mov_b32 v19, v1
	v_readfirstlane_b32 s16, v22
	s_delay_alu instid0(VALU_DEP_3)
	v_readfirstlane_b32 s17, v23
	s_clause 0x3
	global_store_b128 v46, v[16:19], s[16:17]
	global_store_b128 v46, v[24:27], s[16:17] offset:16
	global_store_b128 v46, v[24:27], s[16:17] offset:32
	global_store_b128 v46, v[24:27], s[16:17] offset:48
	s_wait_xcnt 0x0
	s_and_saveexec_b32 s3, s2
	s_cbranch_execz .LBB5_764
; %bb.757:                              ;   in Loop: Header=BB5_3 Depth=1
	s_clause 0x1
	global_load_b64 v[26:27], v1, s[12:13] offset:32 scope:SCOPE_SYS
	global_load_b64 v[16:17], v1, s[12:13] offset:40
	s_mov_b32 s16, exec_lo
	v_dual_mov_b32 v24, s14 :: v_dual_mov_b32 v25, s15
	s_wait_loadcnt 0x0
	v_and_b32_e32 v17, s15, v17
	v_and_b32_e32 v16, s14, v16
	s_delay_alu instid0(VALU_DEP_1) | instskip(NEXT) | instid1(VALU_DEP_1)
	v_mul_u64_e32 v[16:17], 24, v[16:17]
	v_add_nc_u64_e32 v[20:21], v[20:21], v[16:17]
	global_store_b64 v[20:21], v[26:27], off
	global_wb scope:SCOPE_SYS
	s_wait_storecnt 0x0
	s_wait_xcnt 0x0
	global_atomic_cmpswap_b64 v[18:19], v1, v[24:27], s[12:13] offset:32 th:TH_ATOMIC_RETURN scope:SCOPE_SYS
	s_wait_loadcnt 0x0
	s_wait_xcnt 0x0
	v_cmpx_ne_u64_e64 v[18:19], v[26:27]
	s_cbranch_execz .LBB5_760
; %bb.758:                              ;   in Loop: Header=BB5_3 Depth=1
	s_mov_b32 s17, 0
.LBB5_759:                              ;   Parent Loop BB5_3 Depth=1
                                        ; =>  This Inner Loop Header: Depth=2
	v_dual_mov_b32 v16, s14 :: v_dual_mov_b32 v17, s15
	s_sleep 1
	global_store_b64 v[20:21], v[18:19], off
	global_wb scope:SCOPE_SYS
	s_wait_storecnt 0x0
	s_wait_xcnt 0x0
	global_atomic_cmpswap_b64 v[16:17], v1, v[16:19], s[12:13] offset:32 th:TH_ATOMIC_RETURN scope:SCOPE_SYS
	s_wait_loadcnt 0x0
	v_cmp_eq_u64_e32 vcc_lo, v[16:17], v[18:19]
	s_wait_xcnt 0x0
	v_mov_b64_e32 v[18:19], v[16:17]
	s_or_b32 s17, vcc_lo, s17
	s_delay_alu instid0(SALU_CYCLE_1)
	s_and_not1_b32 exec_lo, exec_lo, s17
	s_cbranch_execnz .LBB5_759
.LBB5_760:                              ;   in Loop: Header=BB5_3 Depth=1
	s_or_b32 exec_lo, exec_lo, s16
	global_load_b64 v[16:17], v1, s[12:13] offset:16
	s_mov_b32 s17, exec_lo
	s_mov_b32 s16, exec_lo
	v_mbcnt_lo_u32_b32 v0, s17, 0
	s_wait_xcnt 0x0
	s_delay_alu instid0(VALU_DEP_1)
	v_cmpx_eq_u32_e32 0, v0
	s_cbranch_execz .LBB5_762
; %bb.761:                              ;   in Loop: Header=BB5_3 Depth=1
	s_bcnt1_i32_b32 s17, s17
	s_delay_alu instid0(SALU_CYCLE_1)
	v_mov_b32_e32 v0, s17
	global_wb scope:SCOPE_SYS
	s_wait_loadcnt 0x0
	s_wait_storecnt 0x0
	global_atomic_add_u64 v[16:17], v[0:1], off offset:8 scope:SCOPE_SYS
.LBB5_762:                              ;   in Loop: Header=BB5_3 Depth=1
	s_wait_xcnt 0x0
	s_or_b32 exec_lo, exec_lo, s16
	s_wait_loadcnt 0x0
	global_load_b64 v[18:19], v[16:17], off offset:16
	s_wait_loadcnt 0x0
	v_cmp_eq_u64_e32 vcc_lo, 0, v[18:19]
	s_cbranch_vccnz .LBB5_764
; %bb.763:                              ;   in Loop: Header=BB5_3 Depth=1
	global_load_b32 v0, v[16:17], off offset:24
	s_wait_loadcnt 0x0
	v_readfirstlane_b32 s16, v0
	global_wb scope:SCOPE_SYS
	s_wait_storecnt 0x0
	s_wait_xcnt 0x0
	global_store_b64 v[18:19], v[0:1], off scope:SCOPE_SYS
	s_and_b32 m0, s16, 0xffffff
	s_sendmsg sendmsg(MSG_INTERRUPT)
.LBB5_764:                              ;   in Loop: Header=BB5_3 Depth=1
	s_wait_xcnt 0x0
	s_or_b32 exec_lo, exec_lo, s3
	v_mov_b32_e32 v47, v1
	s_delay_alu instid0(VALU_DEP_1)
	v_add_nc_u64_e32 v[16:17], v[22:23], v[46:47]
	s_branch .LBB5_768
.LBB5_765:                              ;   in Loop: Header=BB5_768 Depth=2
	s_wait_xcnt 0x0
	s_or_b32 exec_lo, exec_lo, s3
	s_delay_alu instid0(VALU_DEP_1)
	v_readfirstlane_b32 s3, v0
	s_cmp_eq_u32 s3, 0
	s_cbranch_scc1 .LBB5_767
; %bb.766:                              ;   in Loop: Header=BB5_768 Depth=2
	s_sleep 1
	s_cbranch_execnz .LBB5_768
	s_branch .LBB5_770
.LBB5_767:                              ;   in Loop: Header=BB5_3 Depth=1
	s_branch .LBB5_770
.LBB5_768:                              ;   Parent Loop BB5_3 Depth=1
                                        ; =>  This Inner Loop Header: Depth=2
	v_mov_b32_e32 v0, 1
	s_and_saveexec_b32 s3, s2
	s_cbranch_execz .LBB5_765
; %bb.769:                              ;   in Loop: Header=BB5_768 Depth=2
	global_load_b32 v0, v[6:7], off offset:20 scope:SCOPE_SYS
	s_wait_loadcnt 0x0
	global_inv scope:SCOPE_SYS
	v_and_b32_e32 v0, 1, v0
	s_branch .LBB5_765
.LBB5_770:                              ;   in Loop: Header=BB5_3 Depth=1
	global_load_b64 v[18:19], v[16:17], off
	s_wait_xcnt 0x0
	s_and_saveexec_b32 s16, s2
	s_cbranch_execz .LBB5_774
; %bb.771:                              ;   in Loop: Header=BB5_3 Depth=1
	s_clause 0x2
	global_load_b64 v[6:7], v1, s[12:13] offset:40
	global_load_b64 v[24:25], v1, s[12:13] offset:24 scope:SCOPE_SYS
	global_load_b64 v[16:17], v1, s[12:13]
	s_wait_loadcnt 0x2
	v_readfirstlane_b32 s18, v6
	v_readfirstlane_b32 s19, v7
	s_add_nc_u64 s[2:3], s[18:19], 1
	s_delay_alu instid0(SALU_CYCLE_1) | instskip(NEXT) | instid1(SALU_CYCLE_1)
	s_add_nc_u64 s[14:15], s[2:3], s[14:15]
	s_cmp_eq_u64 s[14:15], 0
	s_cselect_b32 s3, s3, s15
	s_cselect_b32 s2, s2, s14
	s_delay_alu instid0(SALU_CYCLE_1) | instskip(SKIP_1) | instid1(SALU_CYCLE_1)
	v_dual_mov_b32 v23, s3 :: v_dual_mov_b32 v22, s2
	s_and_b64 s[14:15], s[2:3], s[18:19]
	s_mul_u64 s[14:15], s[14:15], 24
	s_wait_loadcnt 0x0
	v_add_nc_u64_e32 v[6:7], s[14:15], v[16:17]
	global_store_b64 v[6:7], v[24:25], off
	global_wb scope:SCOPE_SYS
	s_wait_storecnt 0x0
	s_wait_xcnt 0x0
	global_atomic_cmpswap_b64 v[22:23], v1, v[22:25], s[12:13] offset:24 th:TH_ATOMIC_RETURN scope:SCOPE_SYS
	s_wait_loadcnt 0x0
	v_cmp_ne_u64_e32 vcc_lo, v[22:23], v[24:25]
	s_wait_xcnt 0x0
	s_and_b32 exec_lo, exec_lo, vcc_lo
	s_cbranch_execz .LBB5_774
; %bb.772:                              ;   in Loop: Header=BB5_3 Depth=1
	s_mov_b32 s14, 0
.LBB5_773:                              ;   Parent Loop BB5_3 Depth=1
                                        ; =>  This Inner Loop Header: Depth=2
	v_dual_mov_b32 v20, s2 :: v_dual_mov_b32 v21, s3
	s_sleep 1
	global_store_b64 v[6:7], v[22:23], off
	global_wb scope:SCOPE_SYS
	s_wait_storecnt 0x0
	s_wait_xcnt 0x0
	global_atomic_cmpswap_b64 v[16:17], v1, v[20:23], s[12:13] offset:24 th:TH_ATOMIC_RETURN scope:SCOPE_SYS
	s_wait_loadcnt 0x0
	v_cmp_eq_u64_e32 vcc_lo, v[16:17], v[22:23]
	s_wait_xcnt 0x0
	v_mov_b64_e32 v[22:23], v[16:17]
	s_or_b32 s14, vcc_lo, s14
	s_delay_alu instid0(SALU_CYCLE_1)
	s_and_not1_b32 exec_lo, exec_lo, s14
	s_cbranch_execnz .LBB5_773
.LBB5_774:                              ;   in Loop: Header=BB5_3 Depth=1
	s_or_b32 exec_lo, exec_lo, s16
.LBB5_775:                              ;   in Loop: Header=BB5_3 Depth=1
	v_readfirstlane_b32 s2, v38
	v_mov_b64_e32 v[6:7], 0
	s_delay_alu instid0(VALU_DEP_2)
	v_cmp_eq_u32_e64 s2, s2, v38
	s_and_saveexec_b32 s3, s2
	s_cbranch_execz .LBB5_781
; %bb.776:                              ;   in Loop: Header=BB5_3 Depth=1
	global_load_b64 v[22:23], v1, s[12:13] offset:24 scope:SCOPE_SYS
	s_wait_loadcnt 0x0
	global_inv scope:SCOPE_SYS
	s_clause 0x1
	global_load_b64 v[6:7], v1, s[12:13] offset:40
	global_load_b64 v[16:17], v1, s[12:13]
	s_mov_b32 s14, exec_lo
	s_wait_loadcnt 0x1
	v_and_b32_e32 v6, v6, v22
	v_and_b32_e32 v7, v7, v23
	s_delay_alu instid0(VALU_DEP_1) | instskip(SKIP_1) | instid1(VALU_DEP_1)
	v_mul_u64_e32 v[6:7], 24, v[6:7]
	s_wait_loadcnt 0x0
	v_add_nc_u64_e32 v[6:7], v[16:17], v[6:7]
	global_load_b64 v[20:21], v[6:7], off scope:SCOPE_SYS
	s_wait_xcnt 0x0
	s_wait_loadcnt 0x0
	global_atomic_cmpswap_b64 v[6:7], v1, v[20:23], s[12:13] offset:24 th:TH_ATOMIC_RETURN scope:SCOPE_SYS
	s_wait_loadcnt 0x0
	global_inv scope:SCOPE_SYS
	s_wait_xcnt 0x0
	v_cmpx_ne_u64_e64 v[6:7], v[22:23]
	s_cbranch_execz .LBB5_780
; %bb.777:                              ;   in Loop: Header=BB5_3 Depth=1
	s_mov_b32 s15, 0
.LBB5_778:                              ;   Parent Loop BB5_3 Depth=1
                                        ; =>  This Inner Loop Header: Depth=2
	s_sleep 1
	s_clause 0x1
	global_load_b64 v[16:17], v1, s[12:13] offset:40
	global_load_b64 v[20:21], v1, s[12:13]
	v_mov_b64_e32 v[22:23], v[6:7]
	s_wait_loadcnt 0x1
	s_delay_alu instid0(VALU_DEP_1) | instskip(SKIP_1) | instid1(VALU_DEP_1)
	v_and_b32_e32 v0, v16, v22
	s_wait_loadcnt 0x0
	v_mad_nc_u64_u32 v[6:7], v0, 24, v[20:21]
	s_delay_alu instid0(VALU_DEP_3) | instskip(NEXT) | instid1(VALU_DEP_1)
	v_and_b32_e32 v0, v17, v23
	v_mad_u32 v7, v0, 24, v7
	global_load_b64 v[20:21], v[6:7], off scope:SCOPE_SYS
	s_wait_xcnt 0x0
	s_wait_loadcnt 0x0
	global_atomic_cmpswap_b64 v[6:7], v1, v[20:23], s[12:13] offset:24 th:TH_ATOMIC_RETURN scope:SCOPE_SYS
	s_wait_loadcnt 0x0
	global_inv scope:SCOPE_SYS
	v_cmp_eq_u64_e32 vcc_lo, v[6:7], v[22:23]
	s_or_b32 s15, vcc_lo, s15
	s_wait_xcnt 0x0
	s_and_not1_b32 exec_lo, exec_lo, s15
	s_cbranch_execnz .LBB5_778
; %bb.779:                              ;   in Loop: Header=BB5_3 Depth=1
	s_or_b32 exec_lo, exec_lo, s15
.LBB5_780:                              ;   in Loop: Header=BB5_3 Depth=1
	s_delay_alu instid0(SALU_CYCLE_1)
	s_or_b32 exec_lo, exec_lo, s14
.LBB5_781:                              ;   in Loop: Header=BB5_3 Depth=1
	s_delay_alu instid0(SALU_CYCLE_1)
	s_or_b32 exec_lo, exec_lo, s3
	s_wait_loadcnt 0x0
	s_clause 0x1
	global_load_b64 v[16:17], v1, s[12:13] offset:40
	global_load_b128 v[22:25], v1, s[12:13]
	v_readfirstlane_b32 s14, v6
	v_readfirstlane_b32 s15, v7
	s_mov_b32 s3, exec_lo
	s_wait_loadcnt 0x1
	v_and_b32_e32 v16, s14, v16
	v_and_b32_e32 v17, s15, v17
	s_delay_alu instid0(VALU_DEP_1) | instskip(SKIP_1) | instid1(VALU_DEP_1)
	v_mul_u64_e32 v[6:7], 24, v[16:17]
	s_wait_loadcnt 0x0
	v_add_nc_u64_e32 v[6:7], v[22:23], v[6:7]
	s_wait_xcnt 0x0
	s_and_saveexec_b32 s16, s2
	s_cbranch_execz .LBB5_783
; %bb.782:                              ;   in Loop: Header=BB5_3 Depth=1
	v_mov_b32_e32 v0, s3
	global_store_b128 v[6:7], v[0:3], off offset:8
.LBB5_783:                              ;   in Loop: Header=BB5_3 Depth=1
	s_wait_xcnt 0x0
	s_or_b32 exec_lo, exec_lo, s16
	v_lshlrev_b64_e32 v[16:17], 12, v[16:17]
	v_mov_b64_e32 v[28:29], s[6:7]
	v_mov_b64_e32 v[26:27], s[4:5]
	v_and_or_b32 v18, 0xffffff1d, v18, 34
	v_dual_mov_b32 v20, v51 :: v_dual_mov_b32 v21, v1
	v_add_nc_u64_e32 v[24:25], v[24:25], v[16:17]
	s_delay_alu instid0(VALU_DEP_1) | instskip(NEXT) | instid1(VALU_DEP_2)
	v_readfirstlane_b32 s16, v24
	v_readfirstlane_b32 s17, v25
	s_clause 0x3
	global_store_b128 v46, v[18:21], s[16:17]
	global_store_b128 v46, v[26:29], s[16:17] offset:16
	global_store_b128 v46, v[26:29], s[16:17] offset:32
	;; [unrolled: 1-line block ×3, first 2 shown]
	s_wait_xcnt 0x0
	s_and_saveexec_b32 s3, s2
	s_cbranch_execz .LBB5_791
; %bb.784:                              ;   in Loop: Header=BB5_3 Depth=1
	s_clause 0x1
	global_load_b64 v[28:29], v1, s[12:13] offset:32 scope:SCOPE_SYS
	global_load_b64 v[16:17], v1, s[12:13] offset:40
	s_mov_b32 s16, exec_lo
	v_dual_mov_b32 v26, s14 :: v_dual_mov_b32 v27, s15
	s_wait_loadcnt 0x0
	v_and_b32_e32 v17, s15, v17
	v_and_b32_e32 v16, s14, v16
	s_delay_alu instid0(VALU_DEP_1) | instskip(NEXT) | instid1(VALU_DEP_1)
	v_mul_u64_e32 v[16:17], 24, v[16:17]
	v_add_nc_u64_e32 v[20:21], v[22:23], v[16:17]
	global_store_b64 v[20:21], v[28:29], off
	global_wb scope:SCOPE_SYS
	s_wait_storecnt 0x0
	s_wait_xcnt 0x0
	global_atomic_cmpswap_b64 v[18:19], v1, v[26:29], s[12:13] offset:32 th:TH_ATOMIC_RETURN scope:SCOPE_SYS
	s_wait_loadcnt 0x0
	s_wait_xcnt 0x0
	v_cmpx_ne_u64_e64 v[18:19], v[28:29]
	s_cbranch_execz .LBB5_787
; %bb.785:                              ;   in Loop: Header=BB5_3 Depth=1
	s_mov_b32 s17, 0
.LBB5_786:                              ;   Parent Loop BB5_3 Depth=1
                                        ; =>  This Inner Loop Header: Depth=2
	v_dual_mov_b32 v16, s14 :: v_dual_mov_b32 v17, s15
	s_sleep 1
	global_store_b64 v[20:21], v[18:19], off
	global_wb scope:SCOPE_SYS
	s_wait_storecnt 0x0
	s_wait_xcnt 0x0
	global_atomic_cmpswap_b64 v[16:17], v1, v[16:19], s[12:13] offset:32 th:TH_ATOMIC_RETURN scope:SCOPE_SYS
	s_wait_loadcnt 0x0
	v_cmp_eq_u64_e32 vcc_lo, v[16:17], v[18:19]
	s_wait_xcnt 0x0
	v_mov_b64_e32 v[18:19], v[16:17]
	s_or_b32 s17, vcc_lo, s17
	s_delay_alu instid0(SALU_CYCLE_1)
	s_and_not1_b32 exec_lo, exec_lo, s17
	s_cbranch_execnz .LBB5_786
.LBB5_787:                              ;   in Loop: Header=BB5_3 Depth=1
	s_or_b32 exec_lo, exec_lo, s16
	global_load_b64 v[16:17], v1, s[12:13] offset:16
	s_mov_b32 s17, exec_lo
	s_mov_b32 s16, exec_lo
	v_mbcnt_lo_u32_b32 v0, s17, 0
	s_wait_xcnt 0x0
	s_delay_alu instid0(VALU_DEP_1)
	v_cmpx_eq_u32_e32 0, v0
	s_cbranch_execz .LBB5_789
; %bb.788:                              ;   in Loop: Header=BB5_3 Depth=1
	s_bcnt1_i32_b32 s17, s17
	s_delay_alu instid0(SALU_CYCLE_1)
	v_mov_b32_e32 v0, s17
	global_wb scope:SCOPE_SYS
	s_wait_loadcnt 0x0
	s_wait_storecnt 0x0
	global_atomic_add_u64 v[16:17], v[0:1], off offset:8 scope:SCOPE_SYS
.LBB5_789:                              ;   in Loop: Header=BB5_3 Depth=1
	s_wait_xcnt 0x0
	s_or_b32 exec_lo, exec_lo, s16
	s_wait_loadcnt 0x0
	global_load_b64 v[18:19], v[16:17], off offset:16
	s_wait_loadcnt 0x0
	v_cmp_eq_u64_e32 vcc_lo, 0, v[18:19]
	s_cbranch_vccnz .LBB5_791
; %bb.790:                              ;   in Loop: Header=BB5_3 Depth=1
	global_load_b32 v0, v[16:17], off offset:24
	s_wait_loadcnt 0x0
	v_readfirstlane_b32 s16, v0
	global_wb scope:SCOPE_SYS
	s_wait_storecnt 0x0
	s_wait_xcnt 0x0
	global_store_b64 v[18:19], v[0:1], off scope:SCOPE_SYS
	s_and_b32 m0, s16, 0xffffff
	s_sendmsg sendmsg(MSG_INTERRUPT)
.LBB5_791:                              ;   in Loop: Header=BB5_3 Depth=1
	s_wait_xcnt 0x0
	s_or_b32 exec_lo, exec_lo, s3
	v_mov_b32_e32 v47, v1
	s_delay_alu instid0(VALU_DEP_1)
	v_add_nc_u64_e32 v[16:17], v[24:25], v[46:47]
	s_branch .LBB5_795
.LBB5_792:                              ;   in Loop: Header=BB5_795 Depth=2
	s_wait_xcnt 0x0
	s_or_b32 exec_lo, exec_lo, s3
	s_delay_alu instid0(VALU_DEP_1)
	v_readfirstlane_b32 s3, v0
	s_cmp_eq_u32 s3, 0
	s_cbranch_scc1 .LBB5_794
; %bb.793:                              ;   in Loop: Header=BB5_795 Depth=2
	s_sleep 1
	s_cbranch_execnz .LBB5_795
	s_branch .LBB5_797
.LBB5_794:                              ;   in Loop: Header=BB5_3 Depth=1
	s_branch .LBB5_797
.LBB5_795:                              ;   Parent Loop BB5_3 Depth=1
                                        ; =>  This Inner Loop Header: Depth=2
	v_mov_b32_e32 v0, 1
	s_and_saveexec_b32 s3, s2
	s_cbranch_execz .LBB5_792
; %bb.796:                              ;   in Loop: Header=BB5_795 Depth=2
	global_load_b32 v0, v[6:7], off offset:20 scope:SCOPE_SYS
	s_wait_loadcnt 0x0
	global_inv scope:SCOPE_SYS
	v_and_b32_e32 v0, 1, v0
	s_branch .LBB5_792
.LBB5_797:                              ;   in Loop: Header=BB5_3 Depth=1
	global_load_b64 v[54:55], v[16:17], off
	s_wait_xcnt 0x0
	s_and_saveexec_b32 s16, s2
	s_cbranch_execz .LBB5_801
; %bb.798:                              ;   in Loop: Header=BB5_3 Depth=1
	s_clause 0x2
	global_load_b64 v[6:7], v1, s[12:13] offset:40
	global_load_b64 v[20:21], v1, s[12:13] offset:24 scope:SCOPE_SYS
	global_load_b64 v[16:17], v1, s[12:13]
	s_wait_loadcnt 0x2
	v_readfirstlane_b32 s18, v6
	v_readfirstlane_b32 s19, v7
	s_add_nc_u64 s[2:3], s[18:19], 1
	s_delay_alu instid0(SALU_CYCLE_1) | instskip(NEXT) | instid1(SALU_CYCLE_1)
	s_add_nc_u64 s[14:15], s[2:3], s[14:15]
	s_cmp_eq_u64 s[14:15], 0
	s_cselect_b32 s3, s3, s15
	s_cselect_b32 s2, s2, s14
	s_delay_alu instid0(SALU_CYCLE_1) | instskip(SKIP_1) | instid1(SALU_CYCLE_1)
	v_dual_mov_b32 v19, s3 :: v_dual_mov_b32 v18, s2
	s_and_b64 s[14:15], s[2:3], s[18:19]
	s_mul_u64 s[14:15], s[14:15], 24
	s_wait_loadcnt 0x0
	v_add_nc_u64_e32 v[6:7], s[14:15], v[16:17]
	global_store_b64 v[6:7], v[20:21], off
	global_wb scope:SCOPE_SYS
	s_wait_storecnt 0x0
	s_wait_xcnt 0x0
	global_atomic_cmpswap_b64 v[18:19], v1, v[18:21], s[12:13] offset:24 th:TH_ATOMIC_RETURN scope:SCOPE_SYS
	s_wait_loadcnt 0x0
	v_cmp_ne_u64_e32 vcc_lo, v[18:19], v[20:21]
	s_and_b32 exec_lo, exec_lo, vcc_lo
	s_cbranch_execz .LBB5_801
; %bb.799:                              ;   in Loop: Header=BB5_3 Depth=1
	s_mov_b32 s14, 0
.LBB5_800:                              ;   Parent Loop BB5_3 Depth=1
                                        ; =>  This Inner Loop Header: Depth=2
	v_dual_mov_b32 v16, s2 :: v_dual_mov_b32 v17, s3
	s_sleep 1
	global_store_b64 v[6:7], v[18:19], off
	global_wb scope:SCOPE_SYS
	s_wait_storecnt 0x0
	s_wait_xcnt 0x0
	global_atomic_cmpswap_b64 v[16:17], v1, v[16:19], s[12:13] offset:24 th:TH_ATOMIC_RETURN scope:SCOPE_SYS
	s_wait_loadcnt 0x0
	v_cmp_eq_u64_e32 vcc_lo, v[16:17], v[18:19]
	v_mov_b64_e32 v[18:19], v[16:17]
	s_or_b32 s14, vcc_lo, s14
	s_delay_alu instid0(SALU_CYCLE_1)
	s_and_not1_b32 exec_lo, exec_lo, s14
	s_cbranch_execnz .LBB5_800
.LBB5_801:                              ;   in Loop: Header=BB5_3 Depth=1
	s_or_b32 exec_lo, exec_lo, s16
	scratch_load_b32 v0, off, off offset:8
	v_readfirstlane_b32 s2, v38
	v_mov_b64_e32 v[6:7], 0
	s_delay_alu instid0(VALU_DEP_2)
	v_cmp_eq_u32_e64 s2, s2, v38
	s_wait_loadcnt 0x0
	scratch_store_b32 off, v0, off offset:12
	s_wait_xcnt 0x0
	flat_atomic_and_b32 v[48:49], v60 scope:SCOPE_DEV
	scratch_load_b32 v51, off, off offset:12
	s_wait_xcnt 0x0
	s_and_saveexec_b32 s3, s2
	s_cbranch_execz .LBB5_807
; %bb.802:                              ;   in Loop: Header=BB5_3 Depth=1
	global_load_b64 v[18:19], v1, s[12:13] offset:24 scope:SCOPE_SYS
	s_wait_loadcnt 0x0
	global_inv scope:SCOPE_SYS
	s_clause 0x1
	global_load_b64 v[6:7], v1, s[12:13] offset:40
	global_load_b64 v[16:17], v1, s[12:13]
	s_mov_b32 s14, exec_lo
	s_wait_loadcnt 0x1
	v_and_b32_e32 v6, v6, v18
	v_and_b32_e32 v7, v7, v19
	s_delay_alu instid0(VALU_DEP_1) | instskip(SKIP_1) | instid1(VALU_DEP_1)
	v_mul_u64_e32 v[6:7], 24, v[6:7]
	s_wait_loadcnt 0x0
	v_add_nc_u64_e32 v[6:7], v[16:17], v[6:7]
	global_load_b64 v[16:17], v[6:7], off scope:SCOPE_SYS
	s_wait_xcnt 0x0
	s_wait_loadcnt 0x0
	global_atomic_cmpswap_b64 v[6:7], v1, v[16:19], s[12:13] offset:24 th:TH_ATOMIC_RETURN scope:SCOPE_SYS
	s_wait_loadcnt 0x0
	global_inv scope:SCOPE_SYS
	s_wait_xcnt 0x0
	v_cmpx_ne_u64_e64 v[6:7], v[18:19]
	s_cbranch_execz .LBB5_806
; %bb.803:                              ;   in Loop: Header=BB5_3 Depth=1
	s_mov_b32 s15, 0
.LBB5_804:                              ;   Parent Loop BB5_3 Depth=1
                                        ; =>  This Inner Loop Header: Depth=2
	s_sleep 1
	s_clause 0x1
	global_load_b64 v[16:17], v1, s[12:13] offset:40
	global_load_b64 v[20:21], v1, s[12:13]
	v_mov_b64_e32 v[18:19], v[6:7]
	s_wait_loadcnt 0x1
	s_delay_alu instid0(VALU_DEP_1) | instskip(SKIP_1) | instid1(VALU_DEP_1)
	v_and_b32_e32 v0, v16, v18
	s_wait_loadcnt 0x0
	v_mad_nc_u64_u32 v[6:7], v0, 24, v[20:21]
	s_delay_alu instid0(VALU_DEP_3) | instskip(NEXT) | instid1(VALU_DEP_1)
	v_and_b32_e32 v0, v17, v19
	v_mad_u32 v7, v0, 24, v7
	global_load_b64 v[16:17], v[6:7], off scope:SCOPE_SYS
	s_wait_xcnt 0x0
	s_wait_loadcnt 0x0
	global_atomic_cmpswap_b64 v[6:7], v1, v[16:19], s[12:13] offset:24 th:TH_ATOMIC_RETURN scope:SCOPE_SYS
	s_wait_loadcnt 0x0
	global_inv scope:SCOPE_SYS
	v_cmp_eq_u64_e32 vcc_lo, v[6:7], v[18:19]
	s_or_b32 s15, vcc_lo, s15
	s_wait_xcnt 0x0
	s_and_not1_b32 exec_lo, exec_lo, s15
	s_cbranch_execnz .LBB5_804
; %bb.805:                              ;   in Loop: Header=BB5_3 Depth=1
	s_or_b32 exec_lo, exec_lo, s15
.LBB5_806:                              ;   in Loop: Header=BB5_3 Depth=1
	s_delay_alu instid0(SALU_CYCLE_1)
	s_or_b32 exec_lo, exec_lo, s14
.LBB5_807:                              ;   in Loop: Header=BB5_3 Depth=1
	s_delay_alu instid0(SALU_CYCLE_1)
	s_or_b32 exec_lo, exec_lo, s3
	s_clause 0x1
	global_load_b64 v[20:21], v1, s[12:13] offset:40
	global_load_b128 v[16:19], v1, s[12:13]
	v_readfirstlane_b32 s14, v6
	v_readfirstlane_b32 s15, v7
	s_mov_b32 s3, exec_lo
	s_wait_loadcnt 0x1
	v_and_b32_e32 v6, s14, v20
	v_and_b32_e32 v7, s15, v21
	s_delay_alu instid0(VALU_DEP_1) | instskip(SKIP_1) | instid1(VALU_DEP_1)
	v_mul_u64_e32 v[20:21], 24, v[6:7]
	s_wait_loadcnt 0x0
	v_add_nc_u64_e32 v[20:21], v[16:17], v[20:21]
	s_wait_xcnt 0x0
	s_and_saveexec_b32 s16, s2
	s_cbranch_execz .LBB5_809
; %bb.808:                              ;   in Loop: Header=BB5_3 Depth=1
	v_mov_b32_e32 v0, s3
	global_store_b128 v[20:21], v[0:3], off offset:8
.LBB5_809:                              ;   in Loop: Header=BB5_3 Depth=1
	s_wait_xcnt 0x0
	s_or_b32 exec_lo, exec_lo, s16
	v_lshlrev_b64_e32 v[6:7], 12, v[6:7]
	v_mov_b64_e32 v[26:27], s[6:7]
	v_mov_b64_e32 v[24:25], s[4:5]
	v_mov_b32_e32 v5, v1
	s_delay_alu instid0(VALU_DEP_4) | instskip(SKIP_1) | instid1(VALU_DEP_2)
	v_add_nc_u64_e32 v[22:23], v[18:19], v[6:7]
	v_dual_mov_b32 v6, v1 :: v_dual_mov_b32 v7, v1
	v_readfirstlane_b32 s16, v22
	s_delay_alu instid0(VALU_DEP_3)
	v_readfirstlane_b32 s17, v23
	s_clause 0x3
	global_store_b128 v46, v[4:7], s[16:17]
	global_store_b128 v46, v[24:27], s[16:17] offset:16
	global_store_b128 v46, v[24:27], s[16:17] offset:32
	;; [unrolled: 1-line block ×3, first 2 shown]
	s_wait_xcnt 0x0
	s_and_saveexec_b32 s3, s2
	s_cbranch_execz .LBB5_817
; %bb.810:                              ;   in Loop: Header=BB5_3 Depth=1
	s_clause 0x1
	global_load_b64 v[26:27], v1, s[12:13] offset:32 scope:SCOPE_SYS
	global_load_b64 v[6:7], v1, s[12:13] offset:40
	s_mov_b32 s16, exec_lo
	v_dual_mov_b32 v24, s14 :: v_dual_mov_b32 v25, s15
	s_wait_loadcnt 0x0
	v_and_b32_e32 v7, s15, v7
	v_and_b32_e32 v6, s14, v6
	s_delay_alu instid0(VALU_DEP_1) | instskip(NEXT) | instid1(VALU_DEP_1)
	v_mul_u64_e32 v[6:7], 24, v[6:7]
	v_add_nc_u64_e32 v[6:7], v[16:17], v[6:7]
	global_store_b64 v[6:7], v[26:27], off
	global_wb scope:SCOPE_SYS
	s_wait_storecnt 0x0
	s_wait_xcnt 0x0
	global_atomic_cmpswap_b64 v[18:19], v1, v[24:27], s[12:13] offset:32 th:TH_ATOMIC_RETURN scope:SCOPE_SYS
	s_wait_loadcnt 0x0
	v_cmpx_ne_u64_e64 v[18:19], v[26:27]
	s_cbranch_execz .LBB5_813
; %bb.811:                              ;   in Loop: Header=BB5_3 Depth=1
	s_mov_b32 s17, 0
.LBB5_812:                              ;   Parent Loop BB5_3 Depth=1
                                        ; =>  This Inner Loop Header: Depth=2
	v_dual_mov_b32 v16, s14 :: v_dual_mov_b32 v17, s15
	s_sleep 1
	global_store_b64 v[6:7], v[18:19], off
	global_wb scope:SCOPE_SYS
	s_wait_storecnt 0x0
	s_wait_xcnt 0x0
	global_atomic_cmpswap_b64 v[16:17], v1, v[16:19], s[12:13] offset:32 th:TH_ATOMIC_RETURN scope:SCOPE_SYS
	s_wait_loadcnt 0x0
	v_cmp_eq_u64_e32 vcc_lo, v[16:17], v[18:19]
	v_mov_b64_e32 v[18:19], v[16:17]
	s_or_b32 s17, vcc_lo, s17
	s_delay_alu instid0(SALU_CYCLE_1)
	s_and_not1_b32 exec_lo, exec_lo, s17
	s_cbranch_execnz .LBB5_812
.LBB5_813:                              ;   in Loop: Header=BB5_3 Depth=1
	s_or_b32 exec_lo, exec_lo, s16
	global_load_b64 v[6:7], v1, s[12:13] offset:16
	s_mov_b32 s17, exec_lo
	s_mov_b32 s16, exec_lo
	v_mbcnt_lo_u32_b32 v0, s17, 0
	s_wait_xcnt 0x0
	s_delay_alu instid0(VALU_DEP_1)
	v_cmpx_eq_u32_e32 0, v0
	s_cbranch_execz .LBB5_815
; %bb.814:                              ;   in Loop: Header=BB5_3 Depth=1
	s_bcnt1_i32_b32 s17, s17
	s_delay_alu instid0(SALU_CYCLE_1)
	v_mov_b32_e32 v0, s17
	global_wb scope:SCOPE_SYS
	s_wait_loadcnt 0x0
	s_wait_storecnt 0x0
	global_atomic_add_u64 v[6:7], v[0:1], off offset:8 scope:SCOPE_SYS
.LBB5_815:                              ;   in Loop: Header=BB5_3 Depth=1
	s_wait_xcnt 0x0
	s_or_b32 exec_lo, exec_lo, s16
	s_wait_loadcnt 0x0
	global_load_b64 v[16:17], v[6:7], off offset:16
	s_wait_loadcnt 0x0
	v_cmp_eq_u64_e32 vcc_lo, 0, v[16:17]
	s_cbranch_vccnz .LBB5_817
; %bb.816:                              ;   in Loop: Header=BB5_3 Depth=1
	global_load_b32 v0, v[6:7], off offset:24
	s_wait_loadcnt 0x0
	v_readfirstlane_b32 s16, v0
	global_wb scope:SCOPE_SYS
	s_wait_storecnt 0x0
	s_wait_xcnt 0x0
	global_store_b64 v[16:17], v[0:1], off scope:SCOPE_SYS
	s_and_b32 m0, s16, 0xffffff
	s_sendmsg sendmsg(MSG_INTERRUPT)
.LBB5_817:                              ;   in Loop: Header=BB5_3 Depth=1
	s_wait_xcnt 0x0
	s_or_b32 exec_lo, exec_lo, s3
	v_mov_b32_e32 v47, v1
	s_delay_alu instid0(VALU_DEP_1)
	v_add_nc_u64_e32 v[6:7], v[22:23], v[46:47]
	s_branch .LBB5_821
.LBB5_818:                              ;   in Loop: Header=BB5_821 Depth=2
	s_wait_xcnt 0x0
	s_or_b32 exec_lo, exec_lo, s3
	s_delay_alu instid0(VALU_DEP_1)
	v_readfirstlane_b32 s3, v0
	s_cmp_eq_u32 s3, 0
	s_cbranch_scc1 .LBB5_820
; %bb.819:                              ;   in Loop: Header=BB5_821 Depth=2
	s_sleep 1
	s_cbranch_execnz .LBB5_821
	s_branch .LBB5_823
.LBB5_820:                              ;   in Loop: Header=BB5_3 Depth=1
	s_branch .LBB5_823
.LBB5_821:                              ;   Parent Loop BB5_3 Depth=1
                                        ; =>  This Inner Loop Header: Depth=2
	v_mov_b32_e32 v0, 1
	s_and_saveexec_b32 s3, s2
	s_cbranch_execz .LBB5_818
; %bb.822:                              ;   in Loop: Header=BB5_821 Depth=2
	global_load_b32 v0, v[20:21], off offset:20 scope:SCOPE_SYS
	s_wait_loadcnt 0x0
	global_inv scope:SCOPE_SYS
	v_and_b32_e32 v0, 1, v0
	s_branch .LBB5_818
.LBB5_823:                              ;   in Loop: Header=BB5_3 Depth=1
	global_load_b64 v[20:21], v[6:7], off
	s_wait_xcnt 0x0
	s_and_saveexec_b32 s16, s2
	s_cbranch_execz .LBB5_827
; %bb.824:                              ;   in Loop: Header=BB5_3 Depth=1
	s_clause 0x2
	global_load_b64 v[6:7], v1, s[12:13] offset:40
	global_load_b64 v[24:25], v1, s[12:13] offset:24 scope:SCOPE_SYS
	global_load_b64 v[16:17], v1, s[12:13]
	s_wait_loadcnt 0x2
	v_readfirstlane_b32 s18, v6
	v_readfirstlane_b32 s19, v7
	s_add_nc_u64 s[2:3], s[18:19], 1
	s_delay_alu instid0(SALU_CYCLE_1) | instskip(NEXT) | instid1(SALU_CYCLE_1)
	s_add_nc_u64 s[14:15], s[2:3], s[14:15]
	s_cmp_eq_u64 s[14:15], 0
	s_cselect_b32 s3, s3, s15
	s_cselect_b32 s2, s2, s14
	s_delay_alu instid0(SALU_CYCLE_1) | instskip(SKIP_1) | instid1(SALU_CYCLE_1)
	v_dual_mov_b32 v23, s3 :: v_dual_mov_b32 v22, s2
	s_and_b64 s[14:15], s[2:3], s[18:19]
	s_mul_u64 s[14:15], s[14:15], 24
	s_wait_loadcnt 0x0
	v_add_nc_u64_e32 v[6:7], s[14:15], v[16:17]
	global_store_b64 v[6:7], v[24:25], off
	global_wb scope:SCOPE_SYS
	s_wait_storecnt 0x0
	s_wait_xcnt 0x0
	global_atomic_cmpswap_b64 v[18:19], v1, v[22:25], s[12:13] offset:24 th:TH_ATOMIC_RETURN scope:SCOPE_SYS
	s_wait_loadcnt 0x0
	v_cmp_ne_u64_e32 vcc_lo, v[18:19], v[24:25]
	s_and_b32 exec_lo, exec_lo, vcc_lo
	s_cbranch_execz .LBB5_827
; %bb.825:                              ;   in Loop: Header=BB5_3 Depth=1
	s_mov_b32 s14, 0
.LBB5_826:                              ;   Parent Loop BB5_3 Depth=1
                                        ; =>  This Inner Loop Header: Depth=2
	v_dual_mov_b32 v16, s2 :: v_dual_mov_b32 v17, s3
	s_sleep 1
	global_store_b64 v[6:7], v[18:19], off
	global_wb scope:SCOPE_SYS
	s_wait_storecnt 0x0
	s_wait_xcnt 0x0
	global_atomic_cmpswap_b64 v[16:17], v1, v[16:19], s[12:13] offset:24 th:TH_ATOMIC_RETURN scope:SCOPE_SYS
	s_wait_loadcnt 0x0
	v_cmp_eq_u64_e32 vcc_lo, v[16:17], v[18:19]
	v_mov_b64_e32 v[18:19], v[16:17]
	s_or_b32 s14, vcc_lo, s14
	s_delay_alu instid0(SALU_CYCLE_1)
	s_and_not1_b32 exec_lo, exec_lo, s14
	s_cbranch_execnz .LBB5_826
.LBB5_827:                              ;   in Loop: Header=BB5_3 Depth=1
	s_or_b32 exec_lo, exec_lo, s16
	s_delay_alu instid0(SALU_CYCLE_1)
	s_and_b32 vcc_lo, exec_lo, s25
	s_cbranch_vccz .LBB5_985
; %bb.828:                              ;   in Loop: Header=BB5_3 Depth=1
	s_wait_loadcnt 0x0
	v_dual_mov_b32 v17, v21 :: v_dual_bitop2_b32 v6, 2, v20 bitop3:0x40
	v_and_b32_e32 v16, -3, v20
	s_mov_b64 s[16:17], 6
	s_get_pc_i64 s[14:15]
	s_add_nc_u64 s[14:15], s[14:15], .str.7@rel64+4
	s_branch .LBB5_830
.LBB5_829:                              ;   in Loop: Header=BB5_830 Depth=2
	s_or_b32 exec_lo, exec_lo, s22
	s_sub_nc_u64 s[16:17], s[16:17], s[18:19]
	s_add_nc_u64 s[14:15], s[14:15], s[18:19]
	s_cmp_lg_u64 s[16:17], 0
	s_cbranch_scc0 .LBB5_905
.LBB5_830:                              ;   Parent Loop BB5_3 Depth=1
                                        ; =>  This Loop Header: Depth=2
                                        ;       Child Loop BB5_833 Depth 3
                                        ;       Child Loop BB5_840 Depth 3
	;; [unrolled: 1-line block ×11, first 2 shown]
	v_min_u64 v[18:19], s[16:17], 56
	v_cmp_gt_u64_e64 s2, s[16:17], 7
	s_and_b32 vcc_lo, exec_lo, s2
	v_readfirstlane_b32 s18, v18
	v_readfirstlane_b32 s19, v19
	s_cbranch_vccnz .LBB5_835
; %bb.831:                              ;   in Loop: Header=BB5_830 Depth=2
	v_mov_b64_e32 v[18:19], 0
	s_cmp_eq_u64 s[16:17], 0
	s_cbranch_scc1 .LBB5_834
; %bb.832:                              ;   in Loop: Header=BB5_830 Depth=2
	s_mov_b64 s[2:3], 0
	s_mov_b64 s[20:21], 0
.LBB5_833:                              ;   Parent Loop BB5_3 Depth=1
                                        ;     Parent Loop BB5_830 Depth=2
                                        ; =>    This Inner Loop Header: Depth=3
	s_wait_xcnt 0x0
	s_add_nc_u64 s[22:23], s[14:15], s[20:21]
	s_add_nc_u64 s[20:21], s[20:21], 1
	global_load_u8 v0, v1, s[22:23]
	s_cmp_lg_u32 s18, s20
	s_wait_loadcnt 0x0
	v_and_b32_e32 v0, 0xffff, v0
	s_delay_alu instid0(VALU_DEP_1) | instskip(SKIP_1) | instid1(VALU_DEP_1)
	v_lshlrev_b64_e32 v[22:23], s2, v[0:1]
	s_add_nc_u64 s[2:3], s[2:3], 8
	v_or_b32_e32 v18, v22, v18
	s_delay_alu instid0(VALU_DEP_2)
	v_or_b32_e32 v19, v23, v19
	s_cbranch_scc1 .LBB5_833
.LBB5_834:                              ;   in Loop: Header=BB5_830 Depth=2
	s_mov_b64 s[2:3], s[14:15]
	s_mov_b32 s28, 0
	s_cbranch_execz .LBB5_836
	s_branch .LBB5_837
.LBB5_835:                              ;   in Loop: Header=BB5_830 Depth=2
	s_add_nc_u64 s[2:3], s[14:15], 8
	s_mov_b32 s28, 0
.LBB5_836:                              ;   in Loop: Header=BB5_830 Depth=2
	global_load_b64 v[18:19], v1, s[14:15]
	s_add_co_i32 s28, s18, -8
.LBB5_837:                              ;   in Loop: Header=BB5_830 Depth=2
	s_delay_alu instid0(SALU_CYCLE_1)
	s_cmp_gt_u32 s28, 7
	s_cbranch_scc1 .LBB5_842
; %bb.838:                              ;   in Loop: Header=BB5_830 Depth=2
	v_mov_b64_e32 v[22:23], 0
	s_cmp_eq_u32 s28, 0
	s_cbranch_scc1 .LBB5_841
; %bb.839:                              ;   in Loop: Header=BB5_830 Depth=2
	s_mov_b64 s[20:21], 0
	s_wait_xcnt 0x0
	s_mov_b64 s[22:23], 0
.LBB5_840:                              ;   Parent Loop BB5_3 Depth=1
                                        ;     Parent Loop BB5_830 Depth=2
                                        ; =>    This Inner Loop Header: Depth=3
	s_wait_xcnt 0x0
	s_add_nc_u64 s[30:31], s[2:3], s[22:23]
	s_add_nc_u64 s[22:23], s[22:23], 1
	global_load_u8 v0, v1, s[30:31]
	s_cmp_lg_u32 s28, s22
	s_wait_loadcnt 0x0
	v_and_b32_e32 v0, 0xffff, v0
	s_delay_alu instid0(VALU_DEP_1) | instskip(SKIP_1) | instid1(VALU_DEP_1)
	v_lshlrev_b64_e32 v[24:25], s20, v[0:1]
	s_add_nc_u64 s[20:21], s[20:21], 8
	v_or_b32_e32 v22, v24, v22
	s_delay_alu instid0(VALU_DEP_2)
	v_or_b32_e32 v23, v25, v23
	s_cbranch_scc1 .LBB5_840
.LBB5_841:                              ;   in Loop: Header=BB5_830 Depth=2
	s_wait_xcnt 0x0
	s_mov_b64 s[20:21], s[2:3]
	s_mov_b32 s29, 0
	s_cbranch_execz .LBB5_843
	s_branch .LBB5_844
.LBB5_842:                              ;   in Loop: Header=BB5_830 Depth=2
	s_add_nc_u64 s[20:21], s[2:3], 8
	s_wait_xcnt 0x0
                                        ; implicit-def: $vgpr22_vgpr23
	s_mov_b32 s29, 0
.LBB5_843:                              ;   in Loop: Header=BB5_830 Depth=2
	global_load_b64 v[22:23], v1, s[2:3]
	s_add_co_i32 s29, s28, -8
.LBB5_844:                              ;   in Loop: Header=BB5_830 Depth=2
	s_delay_alu instid0(SALU_CYCLE_1)
	s_cmp_gt_u32 s29, 7
	s_cbranch_scc1 .LBB5_849
; %bb.845:                              ;   in Loop: Header=BB5_830 Depth=2
	v_mov_b64_e32 v[24:25], 0
	s_cmp_eq_u32 s29, 0
	s_cbranch_scc1 .LBB5_848
; %bb.846:                              ;   in Loop: Header=BB5_830 Depth=2
	s_wait_xcnt 0x0
	s_mov_b64 s[2:3], 0
	s_mov_b64 s[22:23], 0
.LBB5_847:                              ;   Parent Loop BB5_3 Depth=1
                                        ;     Parent Loop BB5_830 Depth=2
                                        ; =>    This Inner Loop Header: Depth=3
	s_wait_xcnt 0x0
	s_add_nc_u64 s[30:31], s[20:21], s[22:23]
	s_add_nc_u64 s[22:23], s[22:23], 1
	global_load_u8 v0, v1, s[30:31]
	s_cmp_lg_u32 s29, s22
	s_wait_loadcnt 0x0
	v_and_b32_e32 v0, 0xffff, v0
	s_delay_alu instid0(VALU_DEP_1) | instskip(SKIP_1) | instid1(VALU_DEP_1)
	v_lshlrev_b64_e32 v[26:27], s2, v[0:1]
	s_add_nc_u64 s[2:3], s[2:3], 8
	v_or_b32_e32 v24, v26, v24
	s_delay_alu instid0(VALU_DEP_2)
	v_or_b32_e32 v25, v27, v25
	s_cbranch_scc1 .LBB5_847
.LBB5_848:                              ;   in Loop: Header=BB5_830 Depth=2
	s_wait_xcnt 0x0
	s_mov_b64 s[2:3], s[20:21]
	s_mov_b32 s28, 0
	s_cbranch_execz .LBB5_850
	s_branch .LBB5_851
.LBB5_849:                              ;   in Loop: Header=BB5_830 Depth=2
	s_wait_xcnt 0x0
	s_add_nc_u64 s[2:3], s[20:21], 8
	s_mov_b32 s28, 0
.LBB5_850:                              ;   in Loop: Header=BB5_830 Depth=2
	global_load_b64 v[24:25], v1, s[20:21]
	s_add_co_i32 s28, s29, -8
.LBB5_851:                              ;   in Loop: Header=BB5_830 Depth=2
	s_delay_alu instid0(SALU_CYCLE_1)
	s_cmp_gt_u32 s28, 7
	s_cbranch_scc1 .LBB5_856
; %bb.852:                              ;   in Loop: Header=BB5_830 Depth=2
	v_mov_b64_e32 v[26:27], 0
	s_cmp_eq_u32 s28, 0
	s_cbranch_scc1 .LBB5_855
; %bb.853:                              ;   in Loop: Header=BB5_830 Depth=2
	s_wait_xcnt 0x0
	s_mov_b64 s[20:21], 0
	s_mov_b64 s[22:23], 0
.LBB5_854:                              ;   Parent Loop BB5_3 Depth=1
                                        ;     Parent Loop BB5_830 Depth=2
                                        ; =>    This Inner Loop Header: Depth=3
	s_wait_xcnt 0x0
	s_add_nc_u64 s[30:31], s[2:3], s[22:23]
	s_add_nc_u64 s[22:23], s[22:23], 1
	global_load_u8 v0, v1, s[30:31]
	s_cmp_lg_u32 s28, s22
	s_wait_loadcnt 0x0
	v_and_b32_e32 v0, 0xffff, v0
	s_delay_alu instid0(VALU_DEP_1) | instskip(SKIP_1) | instid1(VALU_DEP_1)
	v_lshlrev_b64_e32 v[28:29], s20, v[0:1]
	s_add_nc_u64 s[20:21], s[20:21], 8
	v_or_b32_e32 v26, v28, v26
	s_delay_alu instid0(VALU_DEP_2)
	v_or_b32_e32 v27, v29, v27
	s_cbranch_scc1 .LBB5_854
.LBB5_855:                              ;   in Loop: Header=BB5_830 Depth=2
	s_wait_xcnt 0x0
	s_mov_b64 s[20:21], s[2:3]
	s_mov_b32 s29, 0
	s_cbranch_execz .LBB5_857
	s_branch .LBB5_858
.LBB5_856:                              ;   in Loop: Header=BB5_830 Depth=2
	s_wait_xcnt 0x0
	s_add_nc_u64 s[20:21], s[2:3], 8
                                        ; implicit-def: $vgpr26_vgpr27
	s_mov_b32 s29, 0
.LBB5_857:                              ;   in Loop: Header=BB5_830 Depth=2
	global_load_b64 v[26:27], v1, s[2:3]
	s_add_co_i32 s29, s28, -8
.LBB5_858:                              ;   in Loop: Header=BB5_830 Depth=2
	s_delay_alu instid0(SALU_CYCLE_1)
	s_cmp_gt_u32 s29, 7
	s_cbranch_scc1 .LBB5_863
; %bb.859:                              ;   in Loop: Header=BB5_830 Depth=2
	v_mov_b64_e32 v[28:29], 0
	s_cmp_eq_u32 s29, 0
	s_cbranch_scc1 .LBB5_862
; %bb.860:                              ;   in Loop: Header=BB5_830 Depth=2
	s_wait_xcnt 0x0
	s_mov_b64 s[2:3], 0
	s_mov_b64 s[22:23], 0
.LBB5_861:                              ;   Parent Loop BB5_3 Depth=1
                                        ;     Parent Loop BB5_830 Depth=2
                                        ; =>    This Inner Loop Header: Depth=3
	s_wait_xcnt 0x0
	s_add_nc_u64 s[30:31], s[20:21], s[22:23]
	s_add_nc_u64 s[22:23], s[22:23], 1
	global_load_u8 v0, v1, s[30:31]
	s_cmp_lg_u32 s29, s22
	s_wait_loadcnt 0x0
	v_and_b32_e32 v0, 0xffff, v0
	s_delay_alu instid0(VALU_DEP_1) | instskip(SKIP_1) | instid1(VALU_DEP_1)
	v_lshlrev_b64_e32 v[30:31], s2, v[0:1]
	s_add_nc_u64 s[2:3], s[2:3], 8
	v_or_b32_e32 v28, v30, v28
	s_delay_alu instid0(VALU_DEP_2)
	v_or_b32_e32 v29, v31, v29
	s_cbranch_scc1 .LBB5_861
.LBB5_862:                              ;   in Loop: Header=BB5_830 Depth=2
	s_wait_xcnt 0x0
	s_mov_b64 s[2:3], s[20:21]
	s_mov_b32 s28, 0
	s_cbranch_execz .LBB5_864
	s_branch .LBB5_865
.LBB5_863:                              ;   in Loop: Header=BB5_830 Depth=2
	s_wait_xcnt 0x0
	s_add_nc_u64 s[2:3], s[20:21], 8
	s_mov_b32 s28, 0
.LBB5_864:                              ;   in Loop: Header=BB5_830 Depth=2
	global_load_b64 v[28:29], v1, s[20:21]
	s_add_co_i32 s28, s29, -8
.LBB5_865:                              ;   in Loop: Header=BB5_830 Depth=2
	s_delay_alu instid0(SALU_CYCLE_1)
	s_cmp_gt_u32 s28, 7
	s_cbranch_scc1 .LBB5_870
; %bb.866:                              ;   in Loop: Header=BB5_830 Depth=2
	v_mov_b64_e32 v[30:31], 0
	s_cmp_eq_u32 s28, 0
	s_cbranch_scc1 .LBB5_869
; %bb.867:                              ;   in Loop: Header=BB5_830 Depth=2
	s_wait_xcnt 0x0
	s_mov_b64 s[20:21], 0
	s_mov_b64 s[22:23], 0
.LBB5_868:                              ;   Parent Loop BB5_3 Depth=1
                                        ;     Parent Loop BB5_830 Depth=2
                                        ; =>    This Inner Loop Header: Depth=3
	s_wait_xcnt 0x0
	s_add_nc_u64 s[30:31], s[2:3], s[22:23]
	s_add_nc_u64 s[22:23], s[22:23], 1
	global_load_u8 v0, v1, s[30:31]
	s_cmp_lg_u32 s28, s22
	s_wait_loadcnt 0x0
	v_and_b32_e32 v0, 0xffff, v0
	s_delay_alu instid0(VALU_DEP_1) | instskip(SKIP_1) | instid1(VALU_DEP_1)
	v_lshlrev_b64_e32 v[32:33], s20, v[0:1]
	s_add_nc_u64 s[20:21], s[20:21], 8
	v_or_b32_e32 v30, v32, v30
	s_delay_alu instid0(VALU_DEP_2)
	v_or_b32_e32 v31, v33, v31
	s_cbranch_scc1 .LBB5_868
.LBB5_869:                              ;   in Loop: Header=BB5_830 Depth=2
	s_wait_xcnt 0x0
	s_mov_b64 s[20:21], s[2:3]
	s_mov_b32 s29, 0
	s_cbranch_execz .LBB5_871
	s_branch .LBB5_872
.LBB5_870:                              ;   in Loop: Header=BB5_830 Depth=2
	s_wait_xcnt 0x0
	s_add_nc_u64 s[20:21], s[2:3], 8
                                        ; implicit-def: $vgpr30_vgpr31
	s_mov_b32 s29, 0
.LBB5_871:                              ;   in Loop: Header=BB5_830 Depth=2
	global_load_b64 v[30:31], v1, s[2:3]
	s_add_co_i32 s29, s28, -8
.LBB5_872:                              ;   in Loop: Header=BB5_830 Depth=2
	s_delay_alu instid0(SALU_CYCLE_1)
	s_cmp_gt_u32 s29, 7
	s_cbranch_scc1 .LBB5_877
; %bb.873:                              ;   in Loop: Header=BB5_830 Depth=2
	v_mov_b64_e32 v[32:33], 0
	s_cmp_eq_u32 s29, 0
	s_cbranch_scc1 .LBB5_876
; %bb.874:                              ;   in Loop: Header=BB5_830 Depth=2
	s_wait_xcnt 0x0
	s_mov_b64 s[2:3], 0
	s_mov_b64 s[22:23], s[20:21]
.LBB5_875:                              ;   Parent Loop BB5_3 Depth=1
                                        ;     Parent Loop BB5_830 Depth=2
                                        ; =>    This Inner Loop Header: Depth=3
	global_load_u8 v0, v1, s[22:23]
	s_add_co_i32 s29, s29, -1
	s_wait_xcnt 0x0
	s_add_nc_u64 s[22:23], s[22:23], 1
	s_cmp_lg_u32 s29, 0
	s_wait_loadcnt 0x0
	v_and_b32_e32 v0, 0xffff, v0
	s_delay_alu instid0(VALU_DEP_1) | instskip(SKIP_1) | instid1(VALU_DEP_1)
	v_lshlrev_b64_e32 v[34:35], s2, v[0:1]
	s_add_nc_u64 s[2:3], s[2:3], 8
	v_or_b32_e32 v32, v34, v32
	s_delay_alu instid0(VALU_DEP_2)
	v_or_b32_e32 v33, v35, v33
	s_cbranch_scc1 .LBB5_875
.LBB5_876:                              ;   in Loop: Header=BB5_830 Depth=2
	s_wait_xcnt 0x0
	s_cbranch_execz .LBB5_878
	s_branch .LBB5_879
.LBB5_877:                              ;   in Loop: Header=BB5_830 Depth=2
	s_wait_xcnt 0x0
.LBB5_878:                              ;   in Loop: Header=BB5_830 Depth=2
	global_load_b64 v[32:33], v1, s[20:21]
.LBB5_879:                              ;   in Loop: Header=BB5_830 Depth=2
	v_readfirstlane_b32 s2, v38
	v_mov_b64_e32 v[56:57], 0
	s_delay_alu instid0(VALU_DEP_2)
	v_cmp_eq_u32_e64 s2, s2, v38
	s_wait_xcnt 0x0
	s_and_saveexec_b32 s3, s2
	s_cbranch_execz .LBB5_885
; %bb.880:                              ;   in Loop: Header=BB5_830 Depth=2
	global_load_b64 v[36:37], v1, s[12:13] offset:24 scope:SCOPE_SYS
	s_wait_loadcnt 0x0
	global_inv scope:SCOPE_SYS
	s_clause 0x1
	global_load_b64 v[34:35], v1, s[12:13] offset:40
	global_load_b64 v[56:57], v1, s[12:13]
	s_mov_b32 s20, exec_lo
	s_wait_loadcnt 0x1
	v_and_b32_e32 v34, v34, v36
	v_and_b32_e32 v35, v35, v37
	s_delay_alu instid0(VALU_DEP_1) | instskip(SKIP_1) | instid1(VALU_DEP_1)
	v_mul_u64_e32 v[34:35], 24, v[34:35]
	s_wait_loadcnt 0x0
	v_add_nc_u64_e32 v[34:35], v[56:57], v[34:35]
	global_load_b64 v[34:35], v[34:35], off scope:SCOPE_SYS
	s_wait_xcnt 0x0
	s_wait_loadcnt 0x0
	global_atomic_cmpswap_b64 v[56:57], v1, v[34:37], s[12:13] offset:24 th:TH_ATOMIC_RETURN scope:SCOPE_SYS
	s_wait_loadcnt 0x0
	global_inv scope:SCOPE_SYS
	s_wait_xcnt 0x0
	v_cmpx_ne_u64_e64 v[56:57], v[36:37]
	s_cbranch_execz .LBB5_884
; %bb.881:                              ;   in Loop: Header=BB5_830 Depth=2
	s_mov_b32 s21, 0
.LBB5_882:                              ;   Parent Loop BB5_3 Depth=1
                                        ;     Parent Loop BB5_830 Depth=2
                                        ; =>    This Inner Loop Header: Depth=3
	s_sleep 1
	s_clause 0x1
	global_load_b64 v[34:35], v1, s[12:13] offset:40
	global_load_b64 v[58:59], v1, s[12:13]
	v_mov_b64_e32 v[36:37], v[56:57]
	s_wait_loadcnt 0x1
	s_delay_alu instid0(VALU_DEP_1) | instskip(SKIP_1) | instid1(VALU_DEP_1)
	v_and_b32_e32 v0, v34, v36
	s_wait_loadcnt 0x0
	v_mad_nc_u64_u32 v[56:57], v0, 24, v[58:59]
	s_delay_alu instid0(VALU_DEP_3) | instskip(NEXT) | instid1(VALU_DEP_1)
	v_and_b32_e32 v0, v35, v37
	v_mad_u32 v57, v0, 24, v57
	global_load_b64 v[34:35], v[56:57], off scope:SCOPE_SYS
	s_wait_xcnt 0x0
	s_wait_loadcnt 0x0
	global_atomic_cmpswap_b64 v[56:57], v1, v[34:37], s[12:13] offset:24 th:TH_ATOMIC_RETURN scope:SCOPE_SYS
	s_wait_loadcnt 0x0
	global_inv scope:SCOPE_SYS
	v_cmp_eq_u64_e32 vcc_lo, v[56:57], v[36:37]
	s_or_b32 s21, vcc_lo, s21
	s_wait_xcnt 0x0
	s_and_not1_b32 exec_lo, exec_lo, s21
	s_cbranch_execnz .LBB5_882
; %bb.883:                              ;   in Loop: Header=BB5_830 Depth=2
	s_or_b32 exec_lo, exec_lo, s21
.LBB5_884:                              ;   in Loop: Header=BB5_830 Depth=2
	s_delay_alu instid0(SALU_CYCLE_1)
	s_or_b32 exec_lo, exec_lo, s20
.LBB5_885:                              ;   in Loop: Header=BB5_830 Depth=2
	s_delay_alu instid0(SALU_CYCLE_1)
	s_or_b32 exec_lo, exec_lo, s3
	s_clause 0x1
	global_load_b64 v[58:59], v1, s[12:13] offset:40
	global_load_b128 v[34:37], v1, s[12:13]
	v_readfirstlane_b32 s20, v56
	v_readfirstlane_b32 s21, v57
	s_mov_b32 s3, exec_lo
	s_wait_loadcnt 0x1
	v_and_b32_e32 v58, s20, v58
	v_and_b32_e32 v59, s21, v59
	s_delay_alu instid0(VALU_DEP_1) | instskip(SKIP_1) | instid1(VALU_DEP_1)
	v_mul_u64_e32 v[56:57], 24, v[58:59]
	s_wait_loadcnt 0x0
	v_add_nc_u64_e32 v[56:57], v[34:35], v[56:57]
	s_wait_xcnt 0x0
	s_and_saveexec_b32 s22, s2
	s_cbranch_execz .LBB5_887
; %bb.886:                              ;   in Loop: Header=BB5_830 Depth=2
	v_mov_b32_e32 v0, s3
	global_store_b128 v[56:57], v[0:3], off offset:8
.LBB5_887:                              ;   in Loop: Header=BB5_830 Depth=2
	s_wait_xcnt 0x0
	s_or_b32 exec_lo, exec_lo, s22
	v_cmp_lt_u64_e64 vcc_lo, s[16:17], 57
	v_lshlrev_b64_e32 v[58:59], 12, v[58:59]
	v_and_b32_e32 v5, 0xffffff1f, v16
	s_lshl_b32 s3, s18, 2
	s_delay_alu instid0(SALU_CYCLE_1) | instskip(SKIP_1) | instid1(VALU_DEP_3)
	s_add_co_i32 s3, s3, 28
	v_cndmask_b32_e32 v0, 0, v6, vcc_lo
	v_add_nc_u64_e32 v[36:37], v[36:37], v[58:59]
	s_delay_alu instid0(VALU_DEP_2) | instskip(NEXT) | instid1(VALU_DEP_2)
	v_or_b32_e32 v0, v5, v0
	v_readfirstlane_b32 s22, v36
	s_delay_alu instid0(VALU_DEP_3) | instskip(NEXT) | instid1(VALU_DEP_3)
	v_readfirstlane_b32 s23, v37
	v_and_or_b32 v16, 0x1e0, s3, v0
	s_clause 0x3
	global_store_b128 v46, v[16:19], s[22:23]
	global_store_b128 v46, v[22:25], s[22:23] offset:16
	global_store_b128 v46, v[26:29], s[22:23] offset:32
	global_store_b128 v46, v[30:33], s[22:23] offset:48
	s_wait_xcnt 0x0
	s_and_saveexec_b32 s3, s2
	s_cbranch_execz .LBB5_895
; %bb.888:                              ;   in Loop: Header=BB5_830 Depth=2
	s_clause 0x1
	global_load_b64 v[26:27], v1, s[12:13] offset:32 scope:SCOPE_SYS
	global_load_b64 v[16:17], v1, s[12:13] offset:40
	s_mov_b32 s22, exec_lo
	v_dual_mov_b32 v24, s20 :: v_dual_mov_b32 v25, s21
	s_wait_loadcnt 0x0
	v_and_b32_e32 v17, s21, v17
	v_and_b32_e32 v16, s20, v16
	s_delay_alu instid0(VALU_DEP_1) | instskip(NEXT) | instid1(VALU_DEP_1)
	v_mul_u64_e32 v[16:17], 24, v[16:17]
	v_add_nc_u64_e32 v[22:23], v[34:35], v[16:17]
	global_store_b64 v[22:23], v[26:27], off
	global_wb scope:SCOPE_SYS
	s_wait_storecnt 0x0
	s_wait_xcnt 0x0
	global_atomic_cmpswap_b64 v[18:19], v1, v[24:27], s[12:13] offset:32 th:TH_ATOMIC_RETURN scope:SCOPE_SYS
	s_wait_loadcnt 0x0
	v_cmpx_ne_u64_e64 v[18:19], v[26:27]
	s_cbranch_execz .LBB5_891
; %bb.889:                              ;   in Loop: Header=BB5_830 Depth=2
	s_mov_b32 s23, 0
.LBB5_890:                              ;   Parent Loop BB5_3 Depth=1
                                        ;     Parent Loop BB5_830 Depth=2
                                        ; =>    This Inner Loop Header: Depth=3
	v_dual_mov_b32 v16, s20 :: v_dual_mov_b32 v17, s21
	s_sleep 1
	global_store_b64 v[22:23], v[18:19], off
	global_wb scope:SCOPE_SYS
	s_wait_storecnt 0x0
	s_wait_xcnt 0x0
	global_atomic_cmpswap_b64 v[16:17], v1, v[16:19], s[12:13] offset:32 th:TH_ATOMIC_RETURN scope:SCOPE_SYS
	s_wait_loadcnt 0x0
	v_cmp_eq_u64_e32 vcc_lo, v[16:17], v[18:19]
	v_mov_b64_e32 v[18:19], v[16:17]
	s_or_b32 s23, vcc_lo, s23
	s_delay_alu instid0(SALU_CYCLE_1)
	s_and_not1_b32 exec_lo, exec_lo, s23
	s_cbranch_execnz .LBB5_890
.LBB5_891:                              ;   in Loop: Header=BB5_830 Depth=2
	s_or_b32 exec_lo, exec_lo, s22
	global_load_b64 v[16:17], v1, s[12:13] offset:16
	s_mov_b32 s23, exec_lo
	s_mov_b32 s22, exec_lo
	v_mbcnt_lo_u32_b32 v0, s23, 0
	s_wait_xcnt 0x0
	s_delay_alu instid0(VALU_DEP_1)
	v_cmpx_eq_u32_e32 0, v0
	s_cbranch_execz .LBB5_893
; %bb.892:                              ;   in Loop: Header=BB5_830 Depth=2
	s_bcnt1_i32_b32 s23, s23
	s_delay_alu instid0(SALU_CYCLE_1)
	v_mov_b32_e32 v0, s23
	global_wb scope:SCOPE_SYS
	s_wait_loadcnt 0x0
	s_wait_storecnt 0x0
	global_atomic_add_u64 v[16:17], v[0:1], off offset:8 scope:SCOPE_SYS
.LBB5_893:                              ;   in Loop: Header=BB5_830 Depth=2
	s_wait_xcnt 0x0
	s_or_b32 exec_lo, exec_lo, s22
	s_wait_loadcnt 0x0
	global_load_b64 v[18:19], v[16:17], off offset:16
	s_wait_loadcnt 0x0
	v_cmp_eq_u64_e32 vcc_lo, 0, v[18:19]
	s_cbranch_vccnz .LBB5_895
; %bb.894:                              ;   in Loop: Header=BB5_830 Depth=2
	global_load_b32 v0, v[16:17], off offset:24
	s_wait_loadcnt 0x0
	v_readfirstlane_b32 s22, v0
	global_wb scope:SCOPE_SYS
	s_wait_storecnt 0x0
	s_wait_xcnt 0x0
	global_store_b64 v[18:19], v[0:1], off scope:SCOPE_SYS
	s_and_b32 m0, s22, 0xffffff
	s_sendmsg sendmsg(MSG_INTERRUPT)
.LBB5_895:                              ;   in Loop: Header=BB5_830 Depth=2
	s_wait_xcnt 0x0
	s_or_b32 exec_lo, exec_lo, s3
	v_mov_b32_e32 v47, v1
	s_delay_alu instid0(VALU_DEP_1)
	v_add_nc_u64_e32 v[16:17], v[36:37], v[46:47]
	s_branch .LBB5_899
.LBB5_896:                              ;   in Loop: Header=BB5_899 Depth=3
	s_wait_xcnt 0x0
	s_or_b32 exec_lo, exec_lo, s3
	s_delay_alu instid0(VALU_DEP_1)
	v_readfirstlane_b32 s3, v0
	s_cmp_eq_u32 s3, 0
	s_cbranch_scc1 .LBB5_898
; %bb.897:                              ;   in Loop: Header=BB5_899 Depth=3
	s_sleep 1
	s_cbranch_execnz .LBB5_899
	s_branch .LBB5_901
.LBB5_898:                              ;   in Loop: Header=BB5_830 Depth=2
	s_branch .LBB5_901
.LBB5_899:                              ;   Parent Loop BB5_3 Depth=1
                                        ;     Parent Loop BB5_830 Depth=2
                                        ; =>    This Inner Loop Header: Depth=3
	v_mov_b32_e32 v0, 1
	s_and_saveexec_b32 s3, s2
	s_cbranch_execz .LBB5_896
; %bb.900:                              ;   in Loop: Header=BB5_899 Depth=3
	global_load_b32 v0, v[56:57], off offset:20 scope:SCOPE_SYS
	s_wait_loadcnt 0x0
	global_inv scope:SCOPE_SYS
	v_and_b32_e32 v0, 1, v0
	s_branch .LBB5_896
.LBB5_901:                              ;   in Loop: Header=BB5_830 Depth=2
	global_load_b64 v[16:17], v[16:17], off
	s_wait_xcnt 0x0
	s_and_saveexec_b32 s22, s2
	s_cbranch_execz .LBB5_829
; %bb.902:                              ;   in Loop: Header=BB5_830 Depth=2
	s_clause 0x2
	global_load_b64 v[18:19], v1, s[12:13] offset:40
	global_load_b64 v[26:27], v1, s[12:13] offset:24 scope:SCOPE_SYS
	global_load_b64 v[22:23], v1, s[12:13]
	s_wait_loadcnt 0x2
	v_readfirstlane_b32 s28, v18
	v_readfirstlane_b32 s29, v19
	s_add_nc_u64 s[2:3], s[28:29], 1
	s_delay_alu instid0(SALU_CYCLE_1) | instskip(NEXT) | instid1(SALU_CYCLE_1)
	s_add_nc_u64 s[20:21], s[2:3], s[20:21]
	s_cmp_eq_u64 s[20:21], 0
	s_cselect_b32 s3, s3, s21
	s_cselect_b32 s2, s2, s20
	s_delay_alu instid0(SALU_CYCLE_1) | instskip(SKIP_1) | instid1(SALU_CYCLE_1)
	v_dual_mov_b32 v25, s3 :: v_dual_mov_b32 v24, s2
	s_and_b64 s[20:21], s[2:3], s[28:29]
	s_mul_u64 s[20:21], s[20:21], 24
	s_wait_loadcnt 0x0
	v_add_nc_u64_e32 v[18:19], s[20:21], v[22:23]
	global_store_b64 v[18:19], v[26:27], off
	global_wb scope:SCOPE_SYS
	s_wait_storecnt 0x0
	s_wait_xcnt 0x0
	global_atomic_cmpswap_b64 v[24:25], v1, v[24:27], s[12:13] offset:24 th:TH_ATOMIC_RETURN scope:SCOPE_SYS
	s_wait_loadcnt 0x0
	v_cmp_ne_u64_e32 vcc_lo, v[24:25], v[26:27]
	s_and_b32 exec_lo, exec_lo, vcc_lo
	s_cbranch_execz .LBB5_829
; %bb.903:                              ;   in Loop: Header=BB5_830 Depth=2
	s_mov_b32 s20, 0
.LBB5_904:                              ;   Parent Loop BB5_3 Depth=1
                                        ;     Parent Loop BB5_830 Depth=2
                                        ; =>    This Inner Loop Header: Depth=3
	v_dual_mov_b32 v22, s2 :: v_dual_mov_b32 v23, s3
	s_sleep 1
	global_store_b64 v[18:19], v[24:25], off
	global_wb scope:SCOPE_SYS
	s_wait_storecnt 0x0
	s_wait_xcnt 0x0
	global_atomic_cmpswap_b64 v[22:23], v1, v[22:25], s[12:13] offset:24 th:TH_ATOMIC_RETURN scope:SCOPE_SYS
	s_wait_loadcnt 0x0
	v_cmp_eq_u64_e32 vcc_lo, v[22:23], v[24:25]
	v_mov_b64_e32 v[24:25], v[22:23]
	s_or_b32 s20, vcc_lo, s20
	s_delay_alu instid0(SALU_CYCLE_1)
	s_and_not1_b32 exec_lo, exec_lo, s20
	s_cbranch_execnz .LBB5_904
	s_branch .LBB5_829
.LBB5_905:                              ;   in Loop: Header=BB5_3 Depth=1
.LBB5_906:                              ;   in Loop: Header=BB5_3 Depth=1
	s_and_b32 vcc_lo, exec_lo, s26
	s_cbranch_vccz .LBB5_1013
.LBB5_907:                              ;   in Loop: Header=BB5_3 Depth=1
	s_wait_loadcnt 0x0
	v_dual_mov_b32 v19, v17 :: v_dual_bitop2_b32 v6, 2, v16 bitop3:0x40
	v_and_b32_e32 v18, -3, v16
	s_mov_b64 s[14:15], 45
	s_mov_b64 s[16:17], s[10:11]
	s_branch .LBB5_909
.LBB5_908:                              ;   in Loop: Header=BB5_909 Depth=2
	s_or_b32 exec_lo, exec_lo, s22
	s_sub_nc_u64 s[14:15], s[14:15], s[18:19]
	s_add_nc_u64 s[16:17], s[16:17], s[18:19]
	s_cmp_lg_u64 s[14:15], 0
	s_cbranch_scc0 .LBB5_984
.LBB5_909:                              ;   Parent Loop BB5_3 Depth=1
                                        ; =>  This Loop Header: Depth=2
                                        ;       Child Loop BB5_912 Depth 3
                                        ;       Child Loop BB5_919 Depth 3
                                        ;       Child Loop BB5_926 Depth 3
                                        ;       Child Loop BB5_933 Depth 3
                                        ;       Child Loop BB5_940 Depth 3
                                        ;       Child Loop BB5_947 Depth 3
                                        ;       Child Loop BB5_954 Depth 3
                                        ;       Child Loop BB5_961 Depth 3
                                        ;       Child Loop BB5_969 Depth 3
                                        ;       Child Loop BB5_978 Depth 3
                                        ;       Child Loop BB5_983 Depth 3
	v_min_u64 v[20:21], s[14:15], 56
	v_cmp_gt_u64_e64 s2, s[14:15], 7
	s_and_b32 vcc_lo, exec_lo, s2
	v_readfirstlane_b32 s18, v20
	v_readfirstlane_b32 s19, v21
	s_cbranch_vccnz .LBB5_914
; %bb.910:                              ;   in Loop: Header=BB5_909 Depth=2
	v_mov_b64_e32 v[20:21], 0
	s_cmp_eq_u64 s[14:15], 0
	s_cbranch_scc1 .LBB5_913
; %bb.911:                              ;   in Loop: Header=BB5_909 Depth=2
	s_mov_b64 s[2:3], 0
	s_mov_b64 s[20:21], 0
.LBB5_912:                              ;   Parent Loop BB5_3 Depth=1
                                        ;     Parent Loop BB5_909 Depth=2
                                        ; =>    This Inner Loop Header: Depth=3
	s_wait_xcnt 0x0
	s_add_nc_u64 s[22:23], s[16:17], s[20:21]
	s_add_nc_u64 s[20:21], s[20:21], 1
	global_load_u8 v0, v1, s[22:23]
	s_cmp_lg_u32 s18, s20
	s_wait_loadcnt 0x0
	v_and_b32_e32 v0, 0xffff, v0
	s_delay_alu instid0(VALU_DEP_1) | instskip(SKIP_1) | instid1(VALU_DEP_1)
	v_lshlrev_b64_e32 v[22:23], s2, v[0:1]
	s_add_nc_u64 s[2:3], s[2:3], 8
	v_or_b32_e32 v20, v22, v20
	s_delay_alu instid0(VALU_DEP_2)
	v_or_b32_e32 v21, v23, v21
	s_cbranch_scc1 .LBB5_912
.LBB5_913:                              ;   in Loop: Header=BB5_909 Depth=2
	s_mov_b64 s[2:3], s[16:17]
	s_mov_b32 s28, 0
	s_cbranch_execz .LBB5_915
	s_branch .LBB5_916
.LBB5_914:                              ;   in Loop: Header=BB5_909 Depth=2
	s_add_nc_u64 s[2:3], s[16:17], 8
	s_mov_b32 s28, 0
.LBB5_915:                              ;   in Loop: Header=BB5_909 Depth=2
	global_load_b64 v[20:21], v1, s[16:17]
	s_add_co_i32 s28, s18, -8
.LBB5_916:                              ;   in Loop: Header=BB5_909 Depth=2
	s_delay_alu instid0(SALU_CYCLE_1)
	s_cmp_gt_u32 s28, 7
	s_cbranch_scc1 .LBB5_921
; %bb.917:                              ;   in Loop: Header=BB5_909 Depth=2
	v_mov_b64_e32 v[22:23], 0
	s_cmp_eq_u32 s28, 0
	s_cbranch_scc1 .LBB5_920
; %bb.918:                              ;   in Loop: Header=BB5_909 Depth=2
	s_mov_b64 s[20:21], 0
	s_wait_xcnt 0x0
	s_mov_b64 s[22:23], 0
.LBB5_919:                              ;   Parent Loop BB5_3 Depth=1
                                        ;     Parent Loop BB5_909 Depth=2
                                        ; =>    This Inner Loop Header: Depth=3
	s_wait_xcnt 0x0
	s_add_nc_u64 s[30:31], s[2:3], s[22:23]
	s_add_nc_u64 s[22:23], s[22:23], 1
	global_load_u8 v0, v1, s[30:31]
	s_cmp_lg_u32 s28, s22
	s_wait_loadcnt 0x0
	v_and_b32_e32 v0, 0xffff, v0
	s_delay_alu instid0(VALU_DEP_1) | instskip(SKIP_1) | instid1(VALU_DEP_1)
	v_lshlrev_b64_e32 v[24:25], s20, v[0:1]
	s_add_nc_u64 s[20:21], s[20:21], 8
	v_or_b32_e32 v22, v24, v22
	s_delay_alu instid0(VALU_DEP_2)
	v_or_b32_e32 v23, v25, v23
	s_cbranch_scc1 .LBB5_919
.LBB5_920:                              ;   in Loop: Header=BB5_909 Depth=2
	s_wait_xcnt 0x0
	s_mov_b64 s[20:21], s[2:3]
	s_mov_b32 s29, 0
	s_cbranch_execz .LBB5_922
	s_branch .LBB5_923
.LBB5_921:                              ;   in Loop: Header=BB5_909 Depth=2
	s_add_nc_u64 s[20:21], s[2:3], 8
	s_wait_xcnt 0x0
                                        ; implicit-def: $vgpr22_vgpr23
	s_mov_b32 s29, 0
.LBB5_922:                              ;   in Loop: Header=BB5_909 Depth=2
	global_load_b64 v[22:23], v1, s[2:3]
	s_add_co_i32 s29, s28, -8
.LBB5_923:                              ;   in Loop: Header=BB5_909 Depth=2
	s_delay_alu instid0(SALU_CYCLE_1)
	s_cmp_gt_u32 s29, 7
	s_cbranch_scc1 .LBB5_928
; %bb.924:                              ;   in Loop: Header=BB5_909 Depth=2
	v_mov_b64_e32 v[24:25], 0
	s_cmp_eq_u32 s29, 0
	s_cbranch_scc1 .LBB5_927
; %bb.925:                              ;   in Loop: Header=BB5_909 Depth=2
	s_wait_xcnt 0x0
	s_mov_b64 s[2:3], 0
	s_mov_b64 s[22:23], 0
.LBB5_926:                              ;   Parent Loop BB5_3 Depth=1
                                        ;     Parent Loop BB5_909 Depth=2
                                        ; =>    This Inner Loop Header: Depth=3
	s_wait_xcnt 0x0
	s_add_nc_u64 s[30:31], s[20:21], s[22:23]
	s_add_nc_u64 s[22:23], s[22:23], 1
	global_load_u8 v0, v1, s[30:31]
	s_cmp_lg_u32 s29, s22
	s_wait_loadcnt 0x0
	v_and_b32_e32 v0, 0xffff, v0
	s_delay_alu instid0(VALU_DEP_1) | instskip(SKIP_1) | instid1(VALU_DEP_1)
	v_lshlrev_b64_e32 v[26:27], s2, v[0:1]
	s_add_nc_u64 s[2:3], s[2:3], 8
	v_or_b32_e32 v24, v26, v24
	s_delay_alu instid0(VALU_DEP_2)
	v_or_b32_e32 v25, v27, v25
	s_cbranch_scc1 .LBB5_926
.LBB5_927:                              ;   in Loop: Header=BB5_909 Depth=2
	s_wait_xcnt 0x0
	s_mov_b64 s[2:3], s[20:21]
	s_mov_b32 s28, 0
	s_cbranch_execz .LBB5_929
	s_branch .LBB5_930
.LBB5_928:                              ;   in Loop: Header=BB5_909 Depth=2
	s_wait_xcnt 0x0
	s_add_nc_u64 s[2:3], s[20:21], 8
	s_mov_b32 s28, 0
.LBB5_929:                              ;   in Loop: Header=BB5_909 Depth=2
	global_load_b64 v[24:25], v1, s[20:21]
	s_add_co_i32 s28, s29, -8
.LBB5_930:                              ;   in Loop: Header=BB5_909 Depth=2
	s_delay_alu instid0(SALU_CYCLE_1)
	s_cmp_gt_u32 s28, 7
	s_cbranch_scc1 .LBB5_935
; %bb.931:                              ;   in Loop: Header=BB5_909 Depth=2
	v_mov_b64_e32 v[26:27], 0
	s_cmp_eq_u32 s28, 0
	s_cbranch_scc1 .LBB5_934
; %bb.932:                              ;   in Loop: Header=BB5_909 Depth=2
	s_wait_xcnt 0x0
	s_mov_b64 s[20:21], 0
	s_mov_b64 s[22:23], 0
.LBB5_933:                              ;   Parent Loop BB5_3 Depth=1
                                        ;     Parent Loop BB5_909 Depth=2
                                        ; =>    This Inner Loop Header: Depth=3
	s_wait_xcnt 0x0
	s_add_nc_u64 s[30:31], s[2:3], s[22:23]
	s_add_nc_u64 s[22:23], s[22:23], 1
	global_load_u8 v0, v1, s[30:31]
	s_cmp_lg_u32 s28, s22
	s_wait_loadcnt 0x0
	v_and_b32_e32 v0, 0xffff, v0
	s_delay_alu instid0(VALU_DEP_1) | instskip(SKIP_1) | instid1(VALU_DEP_1)
	v_lshlrev_b64_e32 v[28:29], s20, v[0:1]
	s_add_nc_u64 s[20:21], s[20:21], 8
	v_or_b32_e32 v26, v28, v26
	s_delay_alu instid0(VALU_DEP_2)
	v_or_b32_e32 v27, v29, v27
	s_cbranch_scc1 .LBB5_933
.LBB5_934:                              ;   in Loop: Header=BB5_909 Depth=2
	s_wait_xcnt 0x0
	s_mov_b64 s[20:21], s[2:3]
	s_mov_b32 s29, 0
	s_cbranch_execz .LBB5_936
	s_branch .LBB5_937
.LBB5_935:                              ;   in Loop: Header=BB5_909 Depth=2
	s_wait_xcnt 0x0
	s_add_nc_u64 s[20:21], s[2:3], 8
                                        ; implicit-def: $vgpr26_vgpr27
	s_mov_b32 s29, 0
.LBB5_936:                              ;   in Loop: Header=BB5_909 Depth=2
	global_load_b64 v[26:27], v1, s[2:3]
	s_add_co_i32 s29, s28, -8
.LBB5_937:                              ;   in Loop: Header=BB5_909 Depth=2
	s_delay_alu instid0(SALU_CYCLE_1)
	s_cmp_gt_u32 s29, 7
	s_cbranch_scc1 .LBB5_942
; %bb.938:                              ;   in Loop: Header=BB5_909 Depth=2
	v_mov_b64_e32 v[28:29], 0
	s_cmp_eq_u32 s29, 0
	s_cbranch_scc1 .LBB5_941
; %bb.939:                              ;   in Loop: Header=BB5_909 Depth=2
	s_wait_xcnt 0x0
	s_mov_b64 s[2:3], 0
	s_mov_b64 s[22:23], 0
.LBB5_940:                              ;   Parent Loop BB5_3 Depth=1
                                        ;     Parent Loop BB5_909 Depth=2
                                        ; =>    This Inner Loop Header: Depth=3
	s_wait_xcnt 0x0
	s_add_nc_u64 s[30:31], s[20:21], s[22:23]
	s_add_nc_u64 s[22:23], s[22:23], 1
	global_load_u8 v0, v1, s[30:31]
	s_cmp_lg_u32 s29, s22
	s_wait_loadcnt 0x0
	v_and_b32_e32 v0, 0xffff, v0
	s_delay_alu instid0(VALU_DEP_1) | instskip(SKIP_1) | instid1(VALU_DEP_1)
	v_lshlrev_b64_e32 v[30:31], s2, v[0:1]
	s_add_nc_u64 s[2:3], s[2:3], 8
	v_or_b32_e32 v28, v30, v28
	s_delay_alu instid0(VALU_DEP_2)
	v_or_b32_e32 v29, v31, v29
	s_cbranch_scc1 .LBB5_940
.LBB5_941:                              ;   in Loop: Header=BB5_909 Depth=2
	s_wait_xcnt 0x0
	s_mov_b64 s[2:3], s[20:21]
	s_mov_b32 s28, 0
	s_cbranch_execz .LBB5_943
	s_branch .LBB5_944
.LBB5_942:                              ;   in Loop: Header=BB5_909 Depth=2
	s_wait_xcnt 0x0
	s_add_nc_u64 s[2:3], s[20:21], 8
	s_mov_b32 s28, 0
.LBB5_943:                              ;   in Loop: Header=BB5_909 Depth=2
	global_load_b64 v[28:29], v1, s[20:21]
	s_add_co_i32 s28, s29, -8
.LBB5_944:                              ;   in Loop: Header=BB5_909 Depth=2
	s_delay_alu instid0(SALU_CYCLE_1)
	s_cmp_gt_u32 s28, 7
	s_cbranch_scc1 .LBB5_949
; %bb.945:                              ;   in Loop: Header=BB5_909 Depth=2
	v_mov_b64_e32 v[30:31], 0
	s_cmp_eq_u32 s28, 0
	s_cbranch_scc1 .LBB5_948
; %bb.946:                              ;   in Loop: Header=BB5_909 Depth=2
	s_wait_xcnt 0x0
	s_mov_b64 s[20:21], 0
	s_mov_b64 s[22:23], 0
.LBB5_947:                              ;   Parent Loop BB5_3 Depth=1
                                        ;     Parent Loop BB5_909 Depth=2
                                        ; =>    This Inner Loop Header: Depth=3
	s_wait_xcnt 0x0
	s_add_nc_u64 s[30:31], s[2:3], s[22:23]
	s_add_nc_u64 s[22:23], s[22:23], 1
	global_load_u8 v0, v1, s[30:31]
	s_cmp_lg_u32 s28, s22
	s_wait_loadcnt 0x0
	v_and_b32_e32 v0, 0xffff, v0
	s_delay_alu instid0(VALU_DEP_1) | instskip(SKIP_1) | instid1(VALU_DEP_1)
	v_lshlrev_b64_e32 v[32:33], s20, v[0:1]
	s_add_nc_u64 s[20:21], s[20:21], 8
	v_or_b32_e32 v30, v32, v30
	s_delay_alu instid0(VALU_DEP_2)
	v_or_b32_e32 v31, v33, v31
	s_cbranch_scc1 .LBB5_947
.LBB5_948:                              ;   in Loop: Header=BB5_909 Depth=2
	s_wait_xcnt 0x0
	s_mov_b64 s[20:21], s[2:3]
	s_mov_b32 s29, 0
	s_cbranch_execz .LBB5_950
	s_branch .LBB5_951
.LBB5_949:                              ;   in Loop: Header=BB5_909 Depth=2
	s_wait_xcnt 0x0
	s_add_nc_u64 s[20:21], s[2:3], 8
                                        ; implicit-def: $vgpr30_vgpr31
	s_mov_b32 s29, 0
.LBB5_950:                              ;   in Loop: Header=BB5_909 Depth=2
	global_load_b64 v[30:31], v1, s[2:3]
	s_add_co_i32 s29, s28, -8
.LBB5_951:                              ;   in Loop: Header=BB5_909 Depth=2
	s_delay_alu instid0(SALU_CYCLE_1)
	s_cmp_gt_u32 s29, 7
	s_cbranch_scc1 .LBB5_956
; %bb.952:                              ;   in Loop: Header=BB5_909 Depth=2
	v_mov_b64_e32 v[32:33], 0
	s_cmp_eq_u32 s29, 0
	s_cbranch_scc1 .LBB5_955
; %bb.953:                              ;   in Loop: Header=BB5_909 Depth=2
	s_wait_xcnt 0x0
	s_mov_b64 s[2:3], 0
	s_mov_b64 s[22:23], s[20:21]
.LBB5_954:                              ;   Parent Loop BB5_3 Depth=1
                                        ;     Parent Loop BB5_909 Depth=2
                                        ; =>    This Inner Loop Header: Depth=3
	global_load_u8 v0, v1, s[22:23]
	s_add_co_i32 s29, s29, -1
	s_wait_xcnt 0x0
	s_add_nc_u64 s[22:23], s[22:23], 1
	s_cmp_lg_u32 s29, 0
	s_wait_loadcnt 0x0
	v_and_b32_e32 v0, 0xffff, v0
	s_delay_alu instid0(VALU_DEP_1) | instskip(SKIP_1) | instid1(VALU_DEP_1)
	v_lshlrev_b64_e32 v[34:35], s2, v[0:1]
	s_add_nc_u64 s[2:3], s[2:3], 8
	v_or_b32_e32 v32, v34, v32
	s_delay_alu instid0(VALU_DEP_2)
	v_or_b32_e32 v33, v35, v33
	s_cbranch_scc1 .LBB5_954
.LBB5_955:                              ;   in Loop: Header=BB5_909 Depth=2
	s_wait_xcnt 0x0
	s_cbranch_execz .LBB5_957
	s_branch .LBB5_958
.LBB5_956:                              ;   in Loop: Header=BB5_909 Depth=2
	s_wait_xcnt 0x0
.LBB5_957:                              ;   in Loop: Header=BB5_909 Depth=2
	global_load_b64 v[32:33], v1, s[20:21]
.LBB5_958:                              ;   in Loop: Header=BB5_909 Depth=2
	v_readfirstlane_b32 s2, v38
	v_mov_b64_e32 v[56:57], 0
	s_delay_alu instid0(VALU_DEP_2)
	v_cmp_eq_u32_e64 s2, s2, v38
	s_wait_xcnt 0x0
	s_and_saveexec_b32 s3, s2
	s_cbranch_execz .LBB5_964
; %bb.959:                              ;   in Loop: Header=BB5_909 Depth=2
	global_load_b64 v[36:37], v1, s[12:13] offset:24 scope:SCOPE_SYS
	s_wait_loadcnt 0x0
	global_inv scope:SCOPE_SYS
	s_clause 0x1
	global_load_b64 v[34:35], v1, s[12:13] offset:40
	global_load_b64 v[56:57], v1, s[12:13]
	s_mov_b32 s20, exec_lo
	s_wait_loadcnt 0x1
	v_and_b32_e32 v34, v34, v36
	v_and_b32_e32 v35, v35, v37
	s_delay_alu instid0(VALU_DEP_1) | instskip(SKIP_1) | instid1(VALU_DEP_1)
	v_mul_u64_e32 v[34:35], 24, v[34:35]
	s_wait_loadcnt 0x0
	v_add_nc_u64_e32 v[34:35], v[56:57], v[34:35]
	global_load_b64 v[34:35], v[34:35], off scope:SCOPE_SYS
	s_wait_xcnt 0x0
	s_wait_loadcnt 0x0
	global_atomic_cmpswap_b64 v[56:57], v1, v[34:37], s[12:13] offset:24 th:TH_ATOMIC_RETURN scope:SCOPE_SYS
	s_wait_loadcnt 0x0
	global_inv scope:SCOPE_SYS
	s_wait_xcnt 0x0
	v_cmpx_ne_u64_e64 v[56:57], v[36:37]
	s_cbranch_execz .LBB5_963
; %bb.960:                              ;   in Loop: Header=BB5_909 Depth=2
	s_mov_b32 s21, 0
.LBB5_961:                              ;   Parent Loop BB5_3 Depth=1
                                        ;     Parent Loop BB5_909 Depth=2
                                        ; =>    This Inner Loop Header: Depth=3
	s_sleep 1
	s_clause 0x1
	global_load_b64 v[34:35], v1, s[12:13] offset:40
	global_load_b64 v[58:59], v1, s[12:13]
	v_mov_b64_e32 v[36:37], v[56:57]
	s_wait_loadcnt 0x1
	s_delay_alu instid0(VALU_DEP_1) | instskip(SKIP_1) | instid1(VALU_DEP_1)
	v_and_b32_e32 v0, v34, v36
	s_wait_loadcnt 0x0
	v_mad_nc_u64_u32 v[56:57], v0, 24, v[58:59]
	s_delay_alu instid0(VALU_DEP_3) | instskip(NEXT) | instid1(VALU_DEP_1)
	v_and_b32_e32 v0, v35, v37
	v_mad_u32 v57, v0, 24, v57
	global_load_b64 v[34:35], v[56:57], off scope:SCOPE_SYS
	s_wait_xcnt 0x0
	s_wait_loadcnt 0x0
	global_atomic_cmpswap_b64 v[56:57], v1, v[34:37], s[12:13] offset:24 th:TH_ATOMIC_RETURN scope:SCOPE_SYS
	s_wait_loadcnt 0x0
	global_inv scope:SCOPE_SYS
	v_cmp_eq_u64_e32 vcc_lo, v[56:57], v[36:37]
	s_or_b32 s21, vcc_lo, s21
	s_wait_xcnt 0x0
	s_and_not1_b32 exec_lo, exec_lo, s21
	s_cbranch_execnz .LBB5_961
; %bb.962:                              ;   in Loop: Header=BB5_909 Depth=2
	s_or_b32 exec_lo, exec_lo, s21
.LBB5_963:                              ;   in Loop: Header=BB5_909 Depth=2
	s_delay_alu instid0(SALU_CYCLE_1)
	s_or_b32 exec_lo, exec_lo, s20
.LBB5_964:                              ;   in Loop: Header=BB5_909 Depth=2
	s_delay_alu instid0(SALU_CYCLE_1)
	s_or_b32 exec_lo, exec_lo, s3
	s_clause 0x1
	global_load_b64 v[58:59], v1, s[12:13] offset:40
	global_load_b128 v[34:37], v1, s[12:13]
	v_readfirstlane_b32 s20, v56
	v_readfirstlane_b32 s21, v57
	s_mov_b32 s3, exec_lo
	s_wait_loadcnt 0x1
	v_and_b32_e32 v58, s20, v58
	v_and_b32_e32 v59, s21, v59
	s_delay_alu instid0(VALU_DEP_1) | instskip(SKIP_1) | instid1(VALU_DEP_1)
	v_mul_u64_e32 v[56:57], 24, v[58:59]
	s_wait_loadcnt 0x0
	v_add_nc_u64_e32 v[56:57], v[34:35], v[56:57]
	s_wait_xcnt 0x0
	s_and_saveexec_b32 s22, s2
	s_cbranch_execz .LBB5_966
; %bb.965:                              ;   in Loop: Header=BB5_909 Depth=2
	v_mov_b32_e32 v0, s3
	global_store_b128 v[56:57], v[0:3], off offset:8
.LBB5_966:                              ;   in Loop: Header=BB5_909 Depth=2
	s_wait_xcnt 0x0
	s_or_b32 exec_lo, exec_lo, s22
	v_cmp_lt_u64_e64 vcc_lo, s[14:15], 57
	v_lshlrev_b64_e32 v[58:59], 12, v[58:59]
	v_and_b32_e32 v5, 0xffffff1f, v18
	s_lshl_b32 s3, s18, 2
	s_delay_alu instid0(SALU_CYCLE_1) | instskip(SKIP_1) | instid1(VALU_DEP_3)
	s_add_co_i32 s3, s3, 28
	v_cndmask_b32_e32 v0, 0, v6, vcc_lo
	v_add_nc_u64_e32 v[36:37], v[36:37], v[58:59]
	s_delay_alu instid0(VALU_DEP_2) | instskip(NEXT) | instid1(VALU_DEP_2)
	v_or_b32_e32 v0, v5, v0
	v_readfirstlane_b32 s22, v36
	s_delay_alu instid0(VALU_DEP_3) | instskip(NEXT) | instid1(VALU_DEP_3)
	v_readfirstlane_b32 s23, v37
	v_and_or_b32 v18, 0x1e0, s3, v0
	s_clause 0x3
	global_store_b128 v46, v[18:21], s[22:23]
	global_store_b128 v46, v[22:25], s[22:23] offset:16
	global_store_b128 v46, v[26:29], s[22:23] offset:32
	;; [unrolled: 1-line block ×3, first 2 shown]
	s_wait_xcnt 0x0
	s_and_saveexec_b32 s3, s2
	s_cbranch_execz .LBB5_974
; %bb.967:                              ;   in Loop: Header=BB5_909 Depth=2
	s_clause 0x1
	global_load_b64 v[26:27], v1, s[12:13] offset:32 scope:SCOPE_SYS
	global_load_b64 v[18:19], v1, s[12:13] offset:40
	s_mov_b32 s22, exec_lo
	v_dual_mov_b32 v24, s20 :: v_dual_mov_b32 v25, s21
	s_wait_loadcnt 0x0
	v_and_b32_e32 v19, s21, v19
	v_and_b32_e32 v18, s20, v18
	s_delay_alu instid0(VALU_DEP_1) | instskip(NEXT) | instid1(VALU_DEP_1)
	v_mul_u64_e32 v[18:19], 24, v[18:19]
	v_add_nc_u64_e32 v[22:23], v[34:35], v[18:19]
	global_store_b64 v[22:23], v[26:27], off
	global_wb scope:SCOPE_SYS
	s_wait_storecnt 0x0
	s_wait_xcnt 0x0
	global_atomic_cmpswap_b64 v[20:21], v1, v[24:27], s[12:13] offset:32 th:TH_ATOMIC_RETURN scope:SCOPE_SYS
	s_wait_loadcnt 0x0
	v_cmpx_ne_u64_e64 v[20:21], v[26:27]
	s_cbranch_execz .LBB5_970
; %bb.968:                              ;   in Loop: Header=BB5_909 Depth=2
	s_mov_b32 s23, 0
.LBB5_969:                              ;   Parent Loop BB5_3 Depth=1
                                        ;     Parent Loop BB5_909 Depth=2
                                        ; =>    This Inner Loop Header: Depth=3
	v_dual_mov_b32 v18, s20 :: v_dual_mov_b32 v19, s21
	s_sleep 1
	global_store_b64 v[22:23], v[20:21], off
	global_wb scope:SCOPE_SYS
	s_wait_storecnt 0x0
	s_wait_xcnt 0x0
	global_atomic_cmpswap_b64 v[18:19], v1, v[18:21], s[12:13] offset:32 th:TH_ATOMIC_RETURN scope:SCOPE_SYS
	s_wait_loadcnt 0x0
	v_cmp_eq_u64_e32 vcc_lo, v[18:19], v[20:21]
	v_mov_b64_e32 v[20:21], v[18:19]
	s_or_b32 s23, vcc_lo, s23
	s_delay_alu instid0(SALU_CYCLE_1)
	s_and_not1_b32 exec_lo, exec_lo, s23
	s_cbranch_execnz .LBB5_969
.LBB5_970:                              ;   in Loop: Header=BB5_909 Depth=2
	s_or_b32 exec_lo, exec_lo, s22
	global_load_b64 v[18:19], v1, s[12:13] offset:16
	s_mov_b32 s23, exec_lo
	s_mov_b32 s22, exec_lo
	v_mbcnt_lo_u32_b32 v0, s23, 0
	s_wait_xcnt 0x0
	s_delay_alu instid0(VALU_DEP_1)
	v_cmpx_eq_u32_e32 0, v0
	s_cbranch_execz .LBB5_972
; %bb.971:                              ;   in Loop: Header=BB5_909 Depth=2
	s_bcnt1_i32_b32 s23, s23
	s_delay_alu instid0(SALU_CYCLE_1)
	v_mov_b32_e32 v0, s23
	global_wb scope:SCOPE_SYS
	s_wait_loadcnt 0x0
	s_wait_storecnt 0x0
	global_atomic_add_u64 v[18:19], v[0:1], off offset:8 scope:SCOPE_SYS
.LBB5_972:                              ;   in Loop: Header=BB5_909 Depth=2
	s_wait_xcnt 0x0
	s_or_b32 exec_lo, exec_lo, s22
	s_wait_loadcnt 0x0
	global_load_b64 v[20:21], v[18:19], off offset:16
	s_wait_loadcnt 0x0
	v_cmp_eq_u64_e32 vcc_lo, 0, v[20:21]
	s_cbranch_vccnz .LBB5_974
; %bb.973:                              ;   in Loop: Header=BB5_909 Depth=2
	global_load_b32 v0, v[18:19], off offset:24
	s_wait_loadcnt 0x0
	v_readfirstlane_b32 s22, v0
	global_wb scope:SCOPE_SYS
	s_wait_storecnt 0x0
	s_wait_xcnt 0x0
	global_store_b64 v[20:21], v[0:1], off scope:SCOPE_SYS
	s_and_b32 m0, s22, 0xffffff
	s_sendmsg sendmsg(MSG_INTERRUPT)
.LBB5_974:                              ;   in Loop: Header=BB5_909 Depth=2
	s_wait_xcnt 0x0
	s_or_b32 exec_lo, exec_lo, s3
	v_mov_b32_e32 v47, v1
	s_delay_alu instid0(VALU_DEP_1)
	v_add_nc_u64_e32 v[18:19], v[36:37], v[46:47]
	s_branch .LBB5_978
.LBB5_975:                              ;   in Loop: Header=BB5_978 Depth=3
	s_wait_xcnt 0x0
	s_or_b32 exec_lo, exec_lo, s3
	s_delay_alu instid0(VALU_DEP_1)
	v_readfirstlane_b32 s3, v0
	s_cmp_eq_u32 s3, 0
	s_cbranch_scc1 .LBB5_977
; %bb.976:                              ;   in Loop: Header=BB5_978 Depth=3
	s_sleep 1
	s_cbranch_execnz .LBB5_978
	s_branch .LBB5_980
.LBB5_977:                              ;   in Loop: Header=BB5_909 Depth=2
	s_branch .LBB5_980
.LBB5_978:                              ;   Parent Loop BB5_3 Depth=1
                                        ;     Parent Loop BB5_909 Depth=2
                                        ; =>    This Inner Loop Header: Depth=3
	v_mov_b32_e32 v0, 1
	s_and_saveexec_b32 s3, s2
	s_cbranch_execz .LBB5_975
; %bb.979:                              ;   in Loop: Header=BB5_978 Depth=3
	global_load_b32 v0, v[56:57], off offset:20 scope:SCOPE_SYS
	s_wait_loadcnt 0x0
	global_inv scope:SCOPE_SYS
	v_and_b32_e32 v0, 1, v0
	s_branch .LBB5_975
.LBB5_980:                              ;   in Loop: Header=BB5_909 Depth=2
	global_load_b64 v[18:19], v[18:19], off
	s_wait_xcnt 0x0
	s_and_saveexec_b32 s22, s2
	s_cbranch_execz .LBB5_908
; %bb.981:                              ;   in Loop: Header=BB5_909 Depth=2
	s_clause 0x2
	global_load_b64 v[20:21], v1, s[12:13] offset:40
	global_load_b64 v[28:29], v1, s[12:13] offset:24 scope:SCOPE_SYS
	global_load_b64 v[22:23], v1, s[12:13]
	s_wait_loadcnt 0x2
	v_readfirstlane_b32 s28, v20
	v_readfirstlane_b32 s29, v21
	s_add_nc_u64 s[2:3], s[28:29], 1
	s_delay_alu instid0(SALU_CYCLE_1) | instskip(NEXT) | instid1(SALU_CYCLE_1)
	s_add_nc_u64 s[20:21], s[2:3], s[20:21]
	s_cmp_eq_u64 s[20:21], 0
	s_cselect_b32 s3, s3, s21
	s_cselect_b32 s2, s2, s20
	s_delay_alu instid0(SALU_CYCLE_1) | instskip(SKIP_1) | instid1(SALU_CYCLE_1)
	v_dual_mov_b32 v27, s3 :: v_dual_mov_b32 v26, s2
	s_and_b64 s[20:21], s[2:3], s[28:29]
	s_mul_u64 s[20:21], s[20:21], 24
	s_wait_loadcnt 0x0
	v_add_nc_u64_e32 v[24:25], s[20:21], v[22:23]
	global_store_b64 v[24:25], v[28:29], off
	global_wb scope:SCOPE_SYS
	s_wait_storecnt 0x0
	s_wait_xcnt 0x0
	global_atomic_cmpswap_b64 v[22:23], v1, v[26:29], s[12:13] offset:24 th:TH_ATOMIC_RETURN scope:SCOPE_SYS
	s_wait_loadcnt 0x0
	v_cmp_ne_u64_e32 vcc_lo, v[22:23], v[28:29]
	s_and_b32 exec_lo, exec_lo, vcc_lo
	s_cbranch_execz .LBB5_908
; %bb.982:                              ;   in Loop: Header=BB5_909 Depth=2
	s_mov_b32 s20, 0
.LBB5_983:                              ;   Parent Loop BB5_3 Depth=1
                                        ;     Parent Loop BB5_909 Depth=2
                                        ; =>    This Inner Loop Header: Depth=3
	v_dual_mov_b32 v20, s2 :: v_dual_mov_b32 v21, s3
	s_sleep 1
	global_store_b64 v[24:25], v[22:23], off
	global_wb scope:SCOPE_SYS
	s_wait_storecnt 0x0
	s_wait_xcnt 0x0
	global_atomic_cmpswap_b64 v[20:21], v1, v[20:23], s[12:13] offset:24 th:TH_ATOMIC_RETURN scope:SCOPE_SYS
	s_wait_loadcnt 0x0
	v_cmp_eq_u64_e32 vcc_lo, v[20:21], v[22:23]
	v_mov_b64_e32 v[22:23], v[20:21]
	s_or_b32 s20, vcc_lo, s20
	s_delay_alu instid0(SALU_CYCLE_1)
	s_and_not1_b32 exec_lo, exec_lo, s20
	s_cbranch_execnz .LBB5_983
	s_branch .LBB5_908
.LBB5_984:                              ;   in Loop: Header=BB5_3 Depth=1
	s_branch .LBB5_1041
.LBB5_985:                              ;   in Loop: Header=BB5_3 Depth=1
                                        ; implicit-def: $vgpr16_vgpr17
	s_cbranch_execz .LBB5_906
; %bb.986:                              ;   in Loop: Header=BB5_3 Depth=1
	v_readfirstlane_b32 s2, v38
	v_mov_b64_e32 v[6:7], 0
	s_delay_alu instid0(VALU_DEP_2)
	v_cmp_eq_u32_e64 s2, s2, v38
	s_and_saveexec_b32 s3, s2
	s_cbranch_execz .LBB5_992
; %bb.987:                              ;   in Loop: Header=BB5_3 Depth=1
	global_load_b64 v[18:19], v1, s[12:13] offset:24 scope:SCOPE_SYS
	s_wait_loadcnt 0x0
	global_inv scope:SCOPE_SYS
	s_clause 0x1
	global_load_b64 v[6:7], v1, s[12:13] offset:40
	global_load_b64 v[16:17], v1, s[12:13]
	s_mov_b32 s14, exec_lo
	s_wait_loadcnt 0x1
	v_and_b32_e32 v6, v6, v18
	v_and_b32_e32 v7, v7, v19
	s_delay_alu instid0(VALU_DEP_1) | instskip(SKIP_1) | instid1(VALU_DEP_1)
	v_mul_u64_e32 v[6:7], 24, v[6:7]
	s_wait_loadcnt 0x0
	v_add_nc_u64_e32 v[6:7], v[16:17], v[6:7]
	global_load_b64 v[16:17], v[6:7], off scope:SCOPE_SYS
	s_wait_xcnt 0x0
	s_wait_loadcnt 0x0
	global_atomic_cmpswap_b64 v[6:7], v1, v[16:19], s[12:13] offset:24 th:TH_ATOMIC_RETURN scope:SCOPE_SYS
	s_wait_loadcnt 0x0
	global_inv scope:SCOPE_SYS
	s_wait_xcnt 0x0
	v_cmpx_ne_u64_e64 v[6:7], v[18:19]
	s_cbranch_execz .LBB5_991
; %bb.988:                              ;   in Loop: Header=BB5_3 Depth=1
	s_mov_b32 s15, 0
.LBB5_989:                              ;   Parent Loop BB5_3 Depth=1
                                        ; =>  This Inner Loop Header: Depth=2
	s_sleep 1
	s_clause 0x1
	global_load_b64 v[16:17], v1, s[12:13] offset:40
	global_load_b64 v[22:23], v1, s[12:13]
	v_mov_b64_e32 v[18:19], v[6:7]
	s_wait_loadcnt 0x1
	s_delay_alu instid0(VALU_DEP_1) | instskip(SKIP_1) | instid1(VALU_DEP_1)
	v_and_b32_e32 v0, v16, v18
	s_wait_loadcnt 0x0
	v_mad_nc_u64_u32 v[6:7], v0, 24, v[22:23]
	s_delay_alu instid0(VALU_DEP_3) | instskip(NEXT) | instid1(VALU_DEP_1)
	v_and_b32_e32 v0, v17, v19
	v_mad_u32 v7, v0, 24, v7
	global_load_b64 v[16:17], v[6:7], off scope:SCOPE_SYS
	s_wait_xcnt 0x0
	s_wait_loadcnt 0x0
	global_atomic_cmpswap_b64 v[6:7], v1, v[16:19], s[12:13] offset:24 th:TH_ATOMIC_RETURN scope:SCOPE_SYS
	s_wait_loadcnt 0x0
	global_inv scope:SCOPE_SYS
	v_cmp_eq_u64_e32 vcc_lo, v[6:7], v[18:19]
	s_or_b32 s15, vcc_lo, s15
	s_wait_xcnt 0x0
	s_and_not1_b32 exec_lo, exec_lo, s15
	s_cbranch_execnz .LBB5_989
; %bb.990:                              ;   in Loop: Header=BB5_3 Depth=1
	s_or_b32 exec_lo, exec_lo, s15
.LBB5_991:                              ;   in Loop: Header=BB5_3 Depth=1
	s_delay_alu instid0(SALU_CYCLE_1)
	s_or_b32 exec_lo, exec_lo, s14
.LBB5_992:                              ;   in Loop: Header=BB5_3 Depth=1
	s_delay_alu instid0(SALU_CYCLE_1)
	s_or_b32 exec_lo, exec_lo, s3
	global_load_b64 v[22:23], v1, s[12:13] offset:40
	s_wait_loadcnt 0x1
	global_load_b128 v[16:19], v1, s[12:13]
	v_readfirstlane_b32 s14, v6
	v_readfirstlane_b32 s15, v7
	s_mov_b32 s3, exec_lo
	s_wait_loadcnt 0x1
	v_and_b32_e32 v22, s14, v22
	v_and_b32_e32 v23, s15, v23
	s_delay_alu instid0(VALU_DEP_1) | instskip(SKIP_1) | instid1(VALU_DEP_1)
	v_mul_u64_e32 v[6:7], 24, v[22:23]
	s_wait_loadcnt 0x0
	v_add_nc_u64_e32 v[6:7], v[16:17], v[6:7]
	s_wait_xcnt 0x0
	s_and_saveexec_b32 s16, s2
	s_cbranch_execz .LBB5_994
; %bb.993:                              ;   in Loop: Header=BB5_3 Depth=1
	v_mov_b32_e32 v0, s3
	global_store_b128 v[6:7], v[0:3], off offset:8
.LBB5_994:                              ;   in Loop: Header=BB5_3 Depth=1
	s_wait_xcnt 0x0
	s_or_b32 exec_lo, exec_lo, s16
	v_lshlrev_b64_e32 v[22:23], 12, v[22:23]
	v_mov_b64_e32 v[28:29], s[6:7]
	v_mov_b64_e32 v[26:27], s[4:5]
	v_and_or_b32 v20, 0xffffff1f, v20, 32
	s_delay_alu instid0(VALU_DEP_4) | instskip(SKIP_1) | instid1(VALU_DEP_2)
	v_add_nc_u64_e32 v[24:25], v[18:19], v[22:23]
	v_dual_mov_b32 v22, v1 :: v_dual_mov_b32 v23, v1
	v_readfirstlane_b32 s16, v24
	s_delay_alu instid0(VALU_DEP_3)
	v_readfirstlane_b32 s17, v25
	s_clause 0x3
	global_store_b128 v46, v[20:23], s[16:17]
	global_store_b128 v46, v[26:29], s[16:17] offset:16
	global_store_b128 v46, v[26:29], s[16:17] offset:32
	;; [unrolled: 1-line block ×3, first 2 shown]
	s_wait_xcnt 0x0
	s_and_saveexec_b32 s3, s2
	s_cbranch_execz .LBB5_1002
; %bb.995:                              ;   in Loop: Header=BB5_3 Depth=1
	s_clause 0x1
	global_load_b64 v[28:29], v1, s[12:13] offset:32 scope:SCOPE_SYS
	global_load_b64 v[18:19], v1, s[12:13] offset:40
	s_mov_b32 s16, exec_lo
	v_dual_mov_b32 v26, s14 :: v_dual_mov_b32 v27, s15
	s_wait_loadcnt 0x0
	v_and_b32_e32 v19, s15, v19
	v_and_b32_e32 v18, s14, v18
	s_delay_alu instid0(VALU_DEP_1) | instskip(NEXT) | instid1(VALU_DEP_1)
	v_mul_u64_e32 v[18:19], 24, v[18:19]
	v_add_nc_u64_e32 v[20:21], v[16:17], v[18:19]
	global_store_b64 v[20:21], v[28:29], off
	global_wb scope:SCOPE_SYS
	s_wait_storecnt 0x0
	s_wait_xcnt 0x0
	global_atomic_cmpswap_b64 v[18:19], v1, v[26:29], s[12:13] offset:32 th:TH_ATOMIC_RETURN scope:SCOPE_SYS
	s_wait_loadcnt 0x0
	v_cmpx_ne_u64_e64 v[18:19], v[28:29]
	s_cbranch_execz .LBB5_998
; %bb.996:                              ;   in Loop: Header=BB5_3 Depth=1
	s_mov_b32 s17, 0
.LBB5_997:                              ;   Parent Loop BB5_3 Depth=1
                                        ; =>  This Inner Loop Header: Depth=2
	v_dual_mov_b32 v16, s14 :: v_dual_mov_b32 v17, s15
	s_sleep 1
	global_store_b64 v[20:21], v[18:19], off
	global_wb scope:SCOPE_SYS
	s_wait_storecnt 0x0
	s_wait_xcnt 0x0
	global_atomic_cmpswap_b64 v[16:17], v1, v[16:19], s[12:13] offset:32 th:TH_ATOMIC_RETURN scope:SCOPE_SYS
	s_wait_loadcnt 0x0
	v_cmp_eq_u64_e32 vcc_lo, v[16:17], v[18:19]
	v_mov_b64_e32 v[18:19], v[16:17]
	s_or_b32 s17, vcc_lo, s17
	s_delay_alu instid0(SALU_CYCLE_1)
	s_and_not1_b32 exec_lo, exec_lo, s17
	s_cbranch_execnz .LBB5_997
.LBB5_998:                              ;   in Loop: Header=BB5_3 Depth=1
	s_or_b32 exec_lo, exec_lo, s16
	global_load_b64 v[16:17], v1, s[12:13] offset:16
	s_mov_b32 s17, exec_lo
	s_mov_b32 s16, exec_lo
	v_mbcnt_lo_u32_b32 v0, s17, 0
	s_wait_xcnt 0x0
	s_delay_alu instid0(VALU_DEP_1)
	v_cmpx_eq_u32_e32 0, v0
	s_cbranch_execz .LBB5_1000
; %bb.999:                              ;   in Loop: Header=BB5_3 Depth=1
	s_bcnt1_i32_b32 s17, s17
	s_delay_alu instid0(SALU_CYCLE_1)
	v_mov_b32_e32 v0, s17
	global_wb scope:SCOPE_SYS
	s_wait_loadcnt 0x0
	s_wait_storecnt 0x0
	global_atomic_add_u64 v[16:17], v[0:1], off offset:8 scope:SCOPE_SYS
.LBB5_1000:                             ;   in Loop: Header=BB5_3 Depth=1
	s_wait_xcnt 0x0
	s_or_b32 exec_lo, exec_lo, s16
	s_wait_loadcnt 0x0
	global_load_b64 v[18:19], v[16:17], off offset:16
	s_wait_loadcnt 0x0
	v_cmp_eq_u64_e32 vcc_lo, 0, v[18:19]
	s_cbranch_vccnz .LBB5_1002
; %bb.1001:                             ;   in Loop: Header=BB5_3 Depth=1
	global_load_b32 v0, v[16:17], off offset:24
	s_wait_loadcnt 0x0
	v_readfirstlane_b32 s16, v0
	global_wb scope:SCOPE_SYS
	s_wait_storecnt 0x0
	s_wait_xcnt 0x0
	global_store_b64 v[18:19], v[0:1], off scope:SCOPE_SYS
	s_and_b32 m0, s16, 0xffffff
	s_sendmsg sendmsg(MSG_INTERRUPT)
.LBB5_1002:                             ;   in Loop: Header=BB5_3 Depth=1
	s_wait_xcnt 0x0
	s_or_b32 exec_lo, exec_lo, s3
	v_mov_b32_e32 v47, v1
	s_delay_alu instid0(VALU_DEP_1)
	v_add_nc_u64_e32 v[16:17], v[24:25], v[46:47]
	s_branch .LBB5_1006
.LBB5_1003:                             ;   in Loop: Header=BB5_1006 Depth=2
	s_wait_xcnt 0x0
	s_or_b32 exec_lo, exec_lo, s3
	s_delay_alu instid0(VALU_DEP_1)
	v_readfirstlane_b32 s3, v0
	s_cmp_eq_u32 s3, 0
	s_cbranch_scc1 .LBB5_1005
; %bb.1004:                             ;   in Loop: Header=BB5_1006 Depth=2
	s_sleep 1
	s_cbranch_execnz .LBB5_1006
	s_branch .LBB5_1008
.LBB5_1005:                             ;   in Loop: Header=BB5_3 Depth=1
	s_branch .LBB5_1008
.LBB5_1006:                             ;   Parent Loop BB5_3 Depth=1
                                        ; =>  This Inner Loop Header: Depth=2
	v_mov_b32_e32 v0, 1
	s_and_saveexec_b32 s3, s2
	s_cbranch_execz .LBB5_1003
; %bb.1007:                             ;   in Loop: Header=BB5_1006 Depth=2
	global_load_b32 v0, v[6:7], off offset:20 scope:SCOPE_SYS
	s_wait_loadcnt 0x0
	global_inv scope:SCOPE_SYS
	v_and_b32_e32 v0, 1, v0
	s_branch .LBB5_1003
.LBB5_1008:                             ;   in Loop: Header=BB5_3 Depth=1
	global_load_b64 v[16:17], v[16:17], off
	s_wait_xcnt 0x0
	s_and_saveexec_b32 s16, s2
	s_cbranch_execz .LBB5_1012
; %bb.1009:                             ;   in Loop: Header=BB5_3 Depth=1
	s_clause 0x2
	global_load_b64 v[6:7], v1, s[12:13] offset:40
	global_load_b64 v[22:23], v1, s[12:13] offset:24 scope:SCOPE_SYS
	global_load_b64 v[18:19], v1, s[12:13]
	s_wait_loadcnt 0x2
	v_readfirstlane_b32 s18, v6
	v_readfirstlane_b32 s19, v7
	s_add_nc_u64 s[2:3], s[18:19], 1
	s_delay_alu instid0(SALU_CYCLE_1) | instskip(NEXT) | instid1(SALU_CYCLE_1)
	s_add_nc_u64 s[14:15], s[2:3], s[14:15]
	s_cmp_eq_u64 s[14:15], 0
	s_cselect_b32 s3, s3, s15
	s_cselect_b32 s2, s2, s14
	s_delay_alu instid0(SALU_CYCLE_1) | instskip(SKIP_1) | instid1(SALU_CYCLE_1)
	v_dual_mov_b32 v21, s3 :: v_dual_mov_b32 v20, s2
	s_and_b64 s[14:15], s[2:3], s[18:19]
	s_mul_u64 s[14:15], s[14:15], 24
	s_wait_loadcnt 0x0
	v_add_nc_u64_e32 v[6:7], s[14:15], v[18:19]
	global_store_b64 v[6:7], v[22:23], off
	global_wb scope:SCOPE_SYS
	s_wait_storecnt 0x0
	s_wait_xcnt 0x0
	global_atomic_cmpswap_b64 v[20:21], v1, v[20:23], s[12:13] offset:24 th:TH_ATOMIC_RETURN scope:SCOPE_SYS
	s_wait_loadcnt 0x0
	v_cmp_ne_u64_e32 vcc_lo, v[20:21], v[22:23]
	s_and_b32 exec_lo, exec_lo, vcc_lo
	s_cbranch_execz .LBB5_1012
; %bb.1010:                             ;   in Loop: Header=BB5_3 Depth=1
	s_mov_b32 s14, 0
.LBB5_1011:                             ;   Parent Loop BB5_3 Depth=1
                                        ; =>  This Inner Loop Header: Depth=2
	v_dual_mov_b32 v18, s2 :: v_dual_mov_b32 v19, s3
	s_sleep 1
	global_store_b64 v[6:7], v[20:21], off
	global_wb scope:SCOPE_SYS
	s_wait_storecnt 0x0
	s_wait_xcnt 0x0
	global_atomic_cmpswap_b64 v[18:19], v1, v[18:21], s[12:13] offset:24 th:TH_ATOMIC_RETURN scope:SCOPE_SYS
	s_wait_loadcnt 0x0
	v_cmp_eq_u64_e32 vcc_lo, v[18:19], v[20:21]
	v_mov_b64_e32 v[20:21], v[18:19]
	s_or_b32 s14, vcc_lo, s14
	s_delay_alu instid0(SALU_CYCLE_1)
	s_and_not1_b32 exec_lo, exec_lo, s14
	s_cbranch_execnz .LBB5_1011
.LBB5_1012:                             ;   in Loop: Header=BB5_3 Depth=1
	s_or_b32 exec_lo, exec_lo, s16
	s_delay_alu instid0(SALU_CYCLE_1)
	s_and_b32 vcc_lo, exec_lo, s26
	s_cbranch_vccnz .LBB5_907
.LBB5_1013:                             ;   in Loop: Header=BB5_3 Depth=1
                                        ; implicit-def: $vgpr18_vgpr19
	s_cbranch_execz .LBB5_1041
; %bb.1014:                             ;   in Loop: Header=BB5_3 Depth=1
	v_readfirstlane_b32 s2, v38
	v_mov_b64_e32 v[6:7], 0
	s_delay_alu instid0(VALU_DEP_2)
	v_cmp_eq_u32_e64 s2, s2, v38
	s_and_saveexec_b32 s3, s2
	s_cbranch_execz .LBB5_1020
; %bb.1015:                             ;   in Loop: Header=BB5_3 Depth=1
	s_wait_loadcnt 0x0
	global_load_b64 v[20:21], v1, s[12:13] offset:24 scope:SCOPE_SYS
	s_wait_loadcnt 0x0
	global_inv scope:SCOPE_SYS
	s_clause 0x1
	global_load_b64 v[6:7], v1, s[12:13] offset:40
	global_load_b64 v[18:19], v1, s[12:13]
	s_mov_b32 s14, exec_lo
	s_wait_loadcnt 0x1
	v_and_b32_e32 v6, v6, v20
	v_and_b32_e32 v7, v7, v21
	s_delay_alu instid0(VALU_DEP_1) | instskip(SKIP_1) | instid1(VALU_DEP_1)
	v_mul_u64_e32 v[6:7], 24, v[6:7]
	s_wait_loadcnt 0x0
	v_add_nc_u64_e32 v[6:7], v[18:19], v[6:7]
	global_load_b64 v[18:19], v[6:7], off scope:SCOPE_SYS
	s_wait_xcnt 0x0
	s_wait_loadcnt 0x0
	global_atomic_cmpswap_b64 v[6:7], v1, v[18:21], s[12:13] offset:24 th:TH_ATOMIC_RETURN scope:SCOPE_SYS
	s_wait_loadcnt 0x0
	global_inv scope:SCOPE_SYS
	s_wait_xcnt 0x0
	v_cmpx_ne_u64_e64 v[6:7], v[20:21]
	s_cbranch_execz .LBB5_1019
; %bb.1016:                             ;   in Loop: Header=BB5_3 Depth=1
	s_mov_b32 s15, 0
.LBB5_1017:                             ;   Parent Loop BB5_3 Depth=1
                                        ; =>  This Inner Loop Header: Depth=2
	s_sleep 1
	s_clause 0x1
	global_load_b64 v[18:19], v1, s[12:13] offset:40
	global_load_b64 v[22:23], v1, s[12:13]
	v_mov_b64_e32 v[20:21], v[6:7]
	s_wait_loadcnt 0x1
	s_delay_alu instid0(VALU_DEP_1) | instskip(SKIP_1) | instid1(VALU_DEP_1)
	v_and_b32_e32 v0, v18, v20
	s_wait_loadcnt 0x0
	v_mad_nc_u64_u32 v[6:7], v0, 24, v[22:23]
	s_delay_alu instid0(VALU_DEP_3) | instskip(NEXT) | instid1(VALU_DEP_1)
	v_and_b32_e32 v0, v19, v21
	v_mad_u32 v7, v0, 24, v7
	global_load_b64 v[18:19], v[6:7], off scope:SCOPE_SYS
	s_wait_xcnt 0x0
	s_wait_loadcnt 0x0
	global_atomic_cmpswap_b64 v[6:7], v1, v[18:21], s[12:13] offset:24 th:TH_ATOMIC_RETURN scope:SCOPE_SYS
	s_wait_loadcnt 0x0
	global_inv scope:SCOPE_SYS
	v_cmp_eq_u64_e32 vcc_lo, v[6:7], v[20:21]
	s_or_b32 s15, vcc_lo, s15
	s_wait_xcnt 0x0
	s_and_not1_b32 exec_lo, exec_lo, s15
	s_cbranch_execnz .LBB5_1017
; %bb.1018:                             ;   in Loop: Header=BB5_3 Depth=1
	s_or_b32 exec_lo, exec_lo, s15
.LBB5_1019:                             ;   in Loop: Header=BB5_3 Depth=1
	s_delay_alu instid0(SALU_CYCLE_1)
	s_or_b32 exec_lo, exec_lo, s14
.LBB5_1020:                             ;   in Loop: Header=BB5_3 Depth=1
	s_delay_alu instid0(SALU_CYCLE_1)
	s_or_b32 exec_lo, exec_lo, s3
	s_wait_loadcnt 0x0
	s_clause 0x1
	global_load_b64 v[18:19], v1, s[12:13] offset:40
	global_load_b128 v[20:23], v1, s[12:13]
	v_readfirstlane_b32 s14, v6
	v_readfirstlane_b32 s15, v7
	s_mov_b32 s3, exec_lo
	s_wait_loadcnt 0x1
	v_and_b32_e32 v18, s14, v18
	v_and_b32_e32 v19, s15, v19
	s_delay_alu instid0(VALU_DEP_1) | instskip(SKIP_1) | instid1(VALU_DEP_1)
	v_mul_u64_e32 v[6:7], 24, v[18:19]
	s_wait_loadcnt 0x0
	v_add_nc_u64_e32 v[6:7], v[20:21], v[6:7]
	s_wait_xcnt 0x0
	s_and_saveexec_b32 s16, s2
	s_cbranch_execz .LBB5_1022
; %bb.1021:                             ;   in Loop: Header=BB5_3 Depth=1
	v_mov_b32_e32 v0, s3
	global_store_b128 v[6:7], v[0:3], off offset:8
.LBB5_1022:                             ;   in Loop: Header=BB5_3 Depth=1
	s_wait_xcnt 0x0
	s_or_b32 exec_lo, exec_lo, s16
	v_lshlrev_b64_e32 v[18:19], 12, v[18:19]
	v_mov_b64_e32 v[26:27], s[6:7]
	v_mov_b64_e32 v[24:25], s[4:5]
	v_and_or_b32 v16, 0xffffff1f, v16, 32
	s_delay_alu instid0(VALU_DEP_4) | instskip(SKIP_1) | instid1(VALU_DEP_2)
	v_add_nc_u64_e32 v[22:23], v[22:23], v[18:19]
	v_dual_mov_b32 v18, v1 :: v_dual_mov_b32 v19, v1
	v_readfirstlane_b32 s16, v22
	s_delay_alu instid0(VALU_DEP_3)
	v_readfirstlane_b32 s17, v23
	s_clause 0x3
	global_store_b128 v46, v[16:19], s[16:17]
	global_store_b128 v46, v[24:27], s[16:17] offset:16
	global_store_b128 v46, v[24:27], s[16:17] offset:32
	global_store_b128 v46, v[24:27], s[16:17] offset:48
	s_wait_xcnt 0x0
	s_and_saveexec_b32 s3, s2
	s_cbranch_execz .LBB5_1030
; %bb.1023:                             ;   in Loop: Header=BB5_3 Depth=1
	s_clause 0x1
	global_load_b64 v[26:27], v1, s[12:13] offset:32 scope:SCOPE_SYS
	global_load_b64 v[16:17], v1, s[12:13] offset:40
	s_mov_b32 s16, exec_lo
	v_dual_mov_b32 v24, s14 :: v_dual_mov_b32 v25, s15
	s_wait_loadcnt 0x0
	v_and_b32_e32 v17, s15, v17
	v_and_b32_e32 v16, s14, v16
	s_delay_alu instid0(VALU_DEP_1) | instskip(NEXT) | instid1(VALU_DEP_1)
	v_mul_u64_e32 v[16:17], 24, v[16:17]
	v_add_nc_u64_e32 v[20:21], v[20:21], v[16:17]
	global_store_b64 v[20:21], v[26:27], off
	global_wb scope:SCOPE_SYS
	s_wait_storecnt 0x0
	s_wait_xcnt 0x0
	global_atomic_cmpswap_b64 v[18:19], v1, v[24:27], s[12:13] offset:32 th:TH_ATOMIC_RETURN scope:SCOPE_SYS
	s_wait_loadcnt 0x0
	v_cmpx_ne_u64_e64 v[18:19], v[26:27]
	s_cbranch_execz .LBB5_1026
; %bb.1024:                             ;   in Loop: Header=BB5_3 Depth=1
	s_mov_b32 s17, 0
.LBB5_1025:                             ;   Parent Loop BB5_3 Depth=1
                                        ; =>  This Inner Loop Header: Depth=2
	v_dual_mov_b32 v16, s14 :: v_dual_mov_b32 v17, s15
	s_sleep 1
	global_store_b64 v[20:21], v[18:19], off
	global_wb scope:SCOPE_SYS
	s_wait_storecnt 0x0
	s_wait_xcnt 0x0
	global_atomic_cmpswap_b64 v[16:17], v1, v[16:19], s[12:13] offset:32 th:TH_ATOMIC_RETURN scope:SCOPE_SYS
	s_wait_loadcnt 0x0
	v_cmp_eq_u64_e32 vcc_lo, v[16:17], v[18:19]
	v_mov_b64_e32 v[18:19], v[16:17]
	s_or_b32 s17, vcc_lo, s17
	s_delay_alu instid0(SALU_CYCLE_1)
	s_and_not1_b32 exec_lo, exec_lo, s17
	s_cbranch_execnz .LBB5_1025
.LBB5_1026:                             ;   in Loop: Header=BB5_3 Depth=1
	s_or_b32 exec_lo, exec_lo, s16
	global_load_b64 v[16:17], v1, s[12:13] offset:16
	s_mov_b32 s17, exec_lo
	s_mov_b32 s16, exec_lo
	v_mbcnt_lo_u32_b32 v0, s17, 0
	s_wait_xcnt 0x0
	s_delay_alu instid0(VALU_DEP_1)
	v_cmpx_eq_u32_e32 0, v0
	s_cbranch_execz .LBB5_1028
; %bb.1027:                             ;   in Loop: Header=BB5_3 Depth=1
	s_bcnt1_i32_b32 s17, s17
	s_delay_alu instid0(SALU_CYCLE_1)
	v_mov_b32_e32 v0, s17
	global_wb scope:SCOPE_SYS
	s_wait_loadcnt 0x0
	s_wait_storecnt 0x0
	global_atomic_add_u64 v[16:17], v[0:1], off offset:8 scope:SCOPE_SYS
.LBB5_1028:                             ;   in Loop: Header=BB5_3 Depth=1
	s_wait_xcnt 0x0
	s_or_b32 exec_lo, exec_lo, s16
	s_wait_loadcnt 0x0
	global_load_b64 v[18:19], v[16:17], off offset:16
	s_wait_loadcnt 0x0
	v_cmp_eq_u64_e32 vcc_lo, 0, v[18:19]
	s_cbranch_vccnz .LBB5_1030
; %bb.1029:                             ;   in Loop: Header=BB5_3 Depth=1
	global_load_b32 v0, v[16:17], off offset:24
	s_wait_loadcnt 0x0
	v_readfirstlane_b32 s16, v0
	global_wb scope:SCOPE_SYS
	s_wait_storecnt 0x0
	s_wait_xcnt 0x0
	global_store_b64 v[18:19], v[0:1], off scope:SCOPE_SYS
	s_and_b32 m0, s16, 0xffffff
	s_sendmsg sendmsg(MSG_INTERRUPT)
.LBB5_1030:                             ;   in Loop: Header=BB5_3 Depth=1
	s_wait_xcnt 0x0
	s_or_b32 exec_lo, exec_lo, s3
	v_mov_b32_e32 v47, v1
	s_delay_alu instid0(VALU_DEP_1)
	v_add_nc_u64_e32 v[16:17], v[22:23], v[46:47]
	s_branch .LBB5_1034
.LBB5_1031:                             ;   in Loop: Header=BB5_1034 Depth=2
	s_wait_xcnt 0x0
	s_or_b32 exec_lo, exec_lo, s3
	s_delay_alu instid0(VALU_DEP_1)
	v_readfirstlane_b32 s3, v0
	s_cmp_eq_u32 s3, 0
	s_cbranch_scc1 .LBB5_1033
; %bb.1032:                             ;   in Loop: Header=BB5_1034 Depth=2
	s_sleep 1
	s_cbranch_execnz .LBB5_1034
	s_branch .LBB5_1036
.LBB5_1033:                             ;   in Loop: Header=BB5_3 Depth=1
	s_branch .LBB5_1036
.LBB5_1034:                             ;   Parent Loop BB5_3 Depth=1
                                        ; =>  This Inner Loop Header: Depth=2
	v_mov_b32_e32 v0, 1
	s_and_saveexec_b32 s3, s2
	s_cbranch_execz .LBB5_1031
; %bb.1035:                             ;   in Loop: Header=BB5_1034 Depth=2
	global_load_b32 v0, v[6:7], off offset:20 scope:SCOPE_SYS
	s_wait_loadcnt 0x0
	global_inv scope:SCOPE_SYS
	v_and_b32_e32 v0, 1, v0
	s_branch .LBB5_1031
.LBB5_1036:                             ;   in Loop: Header=BB5_3 Depth=1
	global_load_b64 v[18:19], v[16:17], off
	s_wait_xcnt 0x0
	s_and_saveexec_b32 s16, s2
	s_cbranch_execz .LBB5_1040
; %bb.1037:                             ;   in Loop: Header=BB5_3 Depth=1
	s_clause 0x2
	global_load_b64 v[6:7], v1, s[12:13] offset:40
	global_load_b64 v[24:25], v1, s[12:13] offset:24 scope:SCOPE_SYS
	global_load_b64 v[16:17], v1, s[12:13]
	s_wait_loadcnt 0x2
	v_readfirstlane_b32 s18, v6
	v_readfirstlane_b32 s19, v7
	s_add_nc_u64 s[2:3], s[18:19], 1
	s_delay_alu instid0(SALU_CYCLE_1) | instskip(NEXT) | instid1(SALU_CYCLE_1)
	s_add_nc_u64 s[14:15], s[2:3], s[14:15]
	s_cmp_eq_u64 s[14:15], 0
	s_cselect_b32 s3, s3, s15
	s_cselect_b32 s2, s2, s14
	s_delay_alu instid0(SALU_CYCLE_1) | instskip(SKIP_1) | instid1(SALU_CYCLE_1)
	v_dual_mov_b32 v23, s3 :: v_dual_mov_b32 v22, s2
	s_and_b64 s[14:15], s[2:3], s[18:19]
	s_mul_u64 s[14:15], s[14:15], 24
	s_wait_loadcnt 0x0
	v_add_nc_u64_e32 v[6:7], s[14:15], v[16:17]
	global_store_b64 v[6:7], v[24:25], off
	global_wb scope:SCOPE_SYS
	s_wait_storecnt 0x0
	s_wait_xcnt 0x0
	global_atomic_cmpswap_b64 v[22:23], v1, v[22:25], s[12:13] offset:24 th:TH_ATOMIC_RETURN scope:SCOPE_SYS
	s_wait_loadcnt 0x0
	v_cmp_ne_u64_e32 vcc_lo, v[22:23], v[24:25]
	s_and_b32 exec_lo, exec_lo, vcc_lo
	s_cbranch_execz .LBB5_1040
; %bb.1038:                             ;   in Loop: Header=BB5_3 Depth=1
	s_mov_b32 s14, 0
.LBB5_1039:                             ;   Parent Loop BB5_3 Depth=1
                                        ; =>  This Inner Loop Header: Depth=2
	v_dual_mov_b32 v20, s2 :: v_dual_mov_b32 v21, s3
	s_sleep 1
	global_store_b64 v[6:7], v[22:23], off
	global_wb scope:SCOPE_SYS
	s_wait_storecnt 0x0
	s_wait_xcnt 0x0
	global_atomic_cmpswap_b64 v[16:17], v1, v[20:23], s[12:13] offset:24 th:TH_ATOMIC_RETURN scope:SCOPE_SYS
	s_wait_loadcnt 0x0
	v_cmp_eq_u64_e32 vcc_lo, v[16:17], v[22:23]
	v_mov_b64_e32 v[22:23], v[16:17]
	s_or_b32 s14, vcc_lo, s14
	s_delay_alu instid0(SALU_CYCLE_1)
	s_and_not1_b32 exec_lo, exec_lo, s14
	s_cbranch_execnz .LBB5_1039
.LBB5_1040:                             ;   in Loop: Header=BB5_3 Depth=1
	s_or_b32 exec_lo, exec_lo, s16
.LBB5_1041:                             ;   in Loop: Header=BB5_3 Depth=1
	v_readfirstlane_b32 s2, v38
	v_mov_b64_e32 v[6:7], 0
	s_delay_alu instid0(VALU_DEP_2)
	v_cmp_eq_u32_e64 s2, s2, v38
	s_and_saveexec_b32 s3, s2
	s_cbranch_execz .LBB5_1047
; %bb.1042:                             ;   in Loop: Header=BB5_3 Depth=1
	global_load_b64 v[22:23], v1, s[12:13] offset:24 scope:SCOPE_SYS
	s_wait_loadcnt 0x0
	global_inv scope:SCOPE_SYS
	s_clause 0x1
	global_load_b64 v[6:7], v1, s[12:13] offset:40
	global_load_b64 v[16:17], v1, s[12:13]
	s_mov_b32 s14, exec_lo
	s_wait_loadcnt 0x1
	v_and_b32_e32 v6, v6, v22
	v_and_b32_e32 v7, v7, v23
	s_delay_alu instid0(VALU_DEP_1) | instskip(SKIP_1) | instid1(VALU_DEP_1)
	v_mul_u64_e32 v[6:7], 24, v[6:7]
	s_wait_loadcnt 0x0
	v_add_nc_u64_e32 v[6:7], v[16:17], v[6:7]
	global_load_b64 v[20:21], v[6:7], off scope:SCOPE_SYS
	s_wait_xcnt 0x0
	s_wait_loadcnt 0x0
	global_atomic_cmpswap_b64 v[6:7], v1, v[20:23], s[12:13] offset:24 th:TH_ATOMIC_RETURN scope:SCOPE_SYS
	s_wait_loadcnt 0x0
	global_inv scope:SCOPE_SYS
	s_wait_xcnt 0x0
	v_cmpx_ne_u64_e64 v[6:7], v[22:23]
	s_cbranch_execz .LBB5_1046
; %bb.1043:                             ;   in Loop: Header=BB5_3 Depth=1
	s_mov_b32 s15, 0
.LBB5_1044:                             ;   Parent Loop BB5_3 Depth=1
                                        ; =>  This Inner Loop Header: Depth=2
	s_sleep 1
	s_clause 0x1
	global_load_b64 v[16:17], v1, s[12:13] offset:40
	global_load_b64 v[20:21], v1, s[12:13]
	v_mov_b64_e32 v[22:23], v[6:7]
	s_wait_loadcnt 0x1
	s_delay_alu instid0(VALU_DEP_1) | instskip(SKIP_1) | instid1(VALU_DEP_1)
	v_and_b32_e32 v0, v16, v22
	s_wait_loadcnt 0x0
	v_mad_nc_u64_u32 v[6:7], v0, 24, v[20:21]
	s_delay_alu instid0(VALU_DEP_3) | instskip(NEXT) | instid1(VALU_DEP_1)
	v_and_b32_e32 v0, v17, v23
	v_mad_u32 v7, v0, 24, v7
	global_load_b64 v[20:21], v[6:7], off scope:SCOPE_SYS
	s_wait_xcnt 0x0
	s_wait_loadcnt 0x0
	global_atomic_cmpswap_b64 v[6:7], v1, v[20:23], s[12:13] offset:24 th:TH_ATOMIC_RETURN scope:SCOPE_SYS
	s_wait_loadcnt 0x0
	global_inv scope:SCOPE_SYS
	v_cmp_eq_u64_e32 vcc_lo, v[6:7], v[22:23]
	s_or_b32 s15, vcc_lo, s15
	s_wait_xcnt 0x0
	s_and_not1_b32 exec_lo, exec_lo, s15
	s_cbranch_execnz .LBB5_1044
; %bb.1045:                             ;   in Loop: Header=BB5_3 Depth=1
	s_or_b32 exec_lo, exec_lo, s15
.LBB5_1046:                             ;   in Loop: Header=BB5_3 Depth=1
	s_delay_alu instid0(SALU_CYCLE_1)
	s_or_b32 exec_lo, exec_lo, s14
.LBB5_1047:                             ;   in Loop: Header=BB5_3 Depth=1
	s_delay_alu instid0(SALU_CYCLE_1)
	s_or_b32 exec_lo, exec_lo, s3
	s_wait_loadcnt 0x0
	s_clause 0x1
	global_load_b64 v[16:17], v1, s[12:13] offset:40
	global_load_b128 v[22:25], v1, s[12:13]
	v_readfirstlane_b32 s14, v6
	v_readfirstlane_b32 s15, v7
	s_mov_b32 s3, exec_lo
	s_wait_loadcnt 0x1
	v_and_b32_e32 v16, s14, v16
	v_and_b32_e32 v17, s15, v17
	s_delay_alu instid0(VALU_DEP_1) | instskip(SKIP_1) | instid1(VALU_DEP_1)
	v_mul_u64_e32 v[6:7], 24, v[16:17]
	s_wait_loadcnt 0x0
	v_add_nc_u64_e32 v[6:7], v[22:23], v[6:7]
	s_wait_xcnt 0x0
	s_and_saveexec_b32 s16, s2
	s_cbranch_execz .LBB5_1049
; %bb.1048:                             ;   in Loop: Header=BB5_3 Depth=1
	v_mov_b32_e32 v0, s3
	global_store_b128 v[6:7], v[0:3], off offset:8
.LBB5_1049:                             ;   in Loop: Header=BB5_3 Depth=1
	s_wait_xcnt 0x0
	s_or_b32 exec_lo, exec_lo, s16
	v_lshlrev_b64_e32 v[16:17], 12, v[16:17]
	v_mov_b64_e32 v[28:29], s[6:7]
	v_mov_b64_e32 v[26:27], s[4:5]
	v_and_or_b32 v18, 0xffffff1d, v18, 34
	v_dual_mov_b32 v20, v51 :: v_dual_mov_b32 v21, v1
	v_add_nc_u64_e32 v[24:25], v[24:25], v[16:17]
	s_delay_alu instid0(VALU_DEP_1) | instskip(NEXT) | instid1(VALU_DEP_2)
	v_readfirstlane_b32 s16, v24
	v_readfirstlane_b32 s17, v25
	s_clause 0x3
	global_store_b128 v46, v[18:21], s[16:17]
	global_store_b128 v46, v[26:29], s[16:17] offset:16
	global_store_b128 v46, v[26:29], s[16:17] offset:32
	;; [unrolled: 1-line block ×3, first 2 shown]
	s_wait_xcnt 0x0
	s_and_saveexec_b32 s3, s2
	s_cbranch_execz .LBB5_1057
; %bb.1050:                             ;   in Loop: Header=BB5_3 Depth=1
	s_clause 0x1
	global_load_b64 v[28:29], v1, s[12:13] offset:32 scope:SCOPE_SYS
	global_load_b64 v[16:17], v1, s[12:13] offset:40
	s_mov_b32 s16, exec_lo
	v_dual_mov_b32 v26, s14 :: v_dual_mov_b32 v27, s15
	s_wait_loadcnt 0x0
	v_and_b32_e32 v17, s15, v17
	v_and_b32_e32 v16, s14, v16
	s_delay_alu instid0(VALU_DEP_1) | instskip(NEXT) | instid1(VALU_DEP_1)
	v_mul_u64_e32 v[16:17], 24, v[16:17]
	v_add_nc_u64_e32 v[20:21], v[22:23], v[16:17]
	global_store_b64 v[20:21], v[28:29], off
	global_wb scope:SCOPE_SYS
	s_wait_storecnt 0x0
	s_wait_xcnt 0x0
	global_atomic_cmpswap_b64 v[18:19], v1, v[26:29], s[12:13] offset:32 th:TH_ATOMIC_RETURN scope:SCOPE_SYS
	s_wait_loadcnt 0x0
	v_cmpx_ne_u64_e64 v[18:19], v[28:29]
	s_cbranch_execz .LBB5_1053
; %bb.1051:                             ;   in Loop: Header=BB5_3 Depth=1
	s_mov_b32 s17, 0
.LBB5_1052:                             ;   Parent Loop BB5_3 Depth=1
                                        ; =>  This Inner Loop Header: Depth=2
	v_dual_mov_b32 v16, s14 :: v_dual_mov_b32 v17, s15
	s_sleep 1
	global_store_b64 v[20:21], v[18:19], off
	global_wb scope:SCOPE_SYS
	s_wait_storecnt 0x0
	s_wait_xcnt 0x0
	global_atomic_cmpswap_b64 v[16:17], v1, v[16:19], s[12:13] offset:32 th:TH_ATOMIC_RETURN scope:SCOPE_SYS
	s_wait_loadcnt 0x0
	v_cmp_eq_u64_e32 vcc_lo, v[16:17], v[18:19]
	v_mov_b64_e32 v[18:19], v[16:17]
	s_or_b32 s17, vcc_lo, s17
	s_delay_alu instid0(SALU_CYCLE_1)
	s_and_not1_b32 exec_lo, exec_lo, s17
	s_cbranch_execnz .LBB5_1052
.LBB5_1053:                             ;   in Loop: Header=BB5_3 Depth=1
	s_or_b32 exec_lo, exec_lo, s16
	global_load_b64 v[16:17], v1, s[12:13] offset:16
	s_mov_b32 s17, exec_lo
	s_mov_b32 s16, exec_lo
	v_mbcnt_lo_u32_b32 v0, s17, 0
	s_wait_xcnt 0x0
	s_delay_alu instid0(VALU_DEP_1)
	v_cmpx_eq_u32_e32 0, v0
	s_cbranch_execz .LBB5_1055
; %bb.1054:                             ;   in Loop: Header=BB5_3 Depth=1
	s_bcnt1_i32_b32 s17, s17
	s_delay_alu instid0(SALU_CYCLE_1)
	v_mov_b32_e32 v0, s17
	global_wb scope:SCOPE_SYS
	s_wait_loadcnt 0x0
	s_wait_storecnt 0x0
	global_atomic_add_u64 v[16:17], v[0:1], off offset:8 scope:SCOPE_SYS
.LBB5_1055:                             ;   in Loop: Header=BB5_3 Depth=1
	s_wait_xcnt 0x0
	s_or_b32 exec_lo, exec_lo, s16
	s_wait_loadcnt 0x0
	global_load_b64 v[18:19], v[16:17], off offset:16
	s_wait_loadcnt 0x0
	v_cmp_eq_u64_e32 vcc_lo, 0, v[18:19]
	s_cbranch_vccnz .LBB5_1057
; %bb.1056:                             ;   in Loop: Header=BB5_3 Depth=1
	global_load_b32 v0, v[16:17], off offset:24
	s_wait_loadcnt 0x0
	v_readfirstlane_b32 s16, v0
	global_wb scope:SCOPE_SYS
	s_wait_storecnt 0x0
	s_wait_xcnt 0x0
	global_store_b64 v[18:19], v[0:1], off scope:SCOPE_SYS
	s_and_b32 m0, s16, 0xffffff
	s_sendmsg sendmsg(MSG_INTERRUPT)
.LBB5_1057:                             ;   in Loop: Header=BB5_3 Depth=1
	s_wait_xcnt 0x0
	s_or_b32 exec_lo, exec_lo, s3
	v_mov_b32_e32 v47, v1
	s_delay_alu instid0(VALU_DEP_1)
	v_add_nc_u64_e32 v[16:17], v[24:25], v[46:47]
	s_branch .LBB5_1061
.LBB5_1058:                             ;   in Loop: Header=BB5_1061 Depth=2
	s_wait_xcnt 0x0
	s_or_b32 exec_lo, exec_lo, s3
	s_delay_alu instid0(VALU_DEP_1)
	v_readfirstlane_b32 s3, v0
	s_cmp_eq_u32 s3, 0
	s_cbranch_scc1 .LBB5_1060
; %bb.1059:                             ;   in Loop: Header=BB5_1061 Depth=2
	s_sleep 1
	s_cbranch_execnz .LBB5_1061
	s_branch .LBB5_1063
.LBB5_1060:                             ;   in Loop: Header=BB5_3 Depth=1
	s_branch .LBB5_1063
.LBB5_1061:                             ;   Parent Loop BB5_3 Depth=1
                                        ; =>  This Inner Loop Header: Depth=2
	v_mov_b32_e32 v0, 1
	s_and_saveexec_b32 s3, s2
	s_cbranch_execz .LBB5_1058
; %bb.1062:                             ;   in Loop: Header=BB5_1061 Depth=2
	global_load_b32 v0, v[6:7], off offset:20 scope:SCOPE_SYS
	s_wait_loadcnt 0x0
	global_inv scope:SCOPE_SYS
	v_and_b32_e32 v0, 1, v0
	s_branch .LBB5_1058
.LBB5_1063:                             ;   in Loop: Header=BB5_3 Depth=1
	global_load_b64 v[6:7], v[16:17], off
	s_wait_xcnt 0x0
	s_and_saveexec_b32 s16, s2
	s_cbranch_execz .LBB5_2
; %bb.1064:                             ;   in Loop: Header=BB5_3 Depth=1
	s_clause 0x2
	global_load_b64 v[16:17], v1, s[12:13] offset:40
	global_load_b64 v[24:25], v1, s[12:13] offset:24 scope:SCOPE_SYS
	global_load_b64 v[18:19], v1, s[12:13]
	s_wait_loadcnt 0x2
	v_readfirstlane_b32 s18, v16
	v_readfirstlane_b32 s19, v17
	s_add_nc_u64 s[2:3], s[18:19], 1
	s_delay_alu instid0(SALU_CYCLE_1) | instskip(NEXT) | instid1(SALU_CYCLE_1)
	s_add_nc_u64 s[14:15], s[2:3], s[14:15]
	s_cmp_eq_u64 s[14:15], 0
	s_cselect_b32 s3, s3, s15
	s_cselect_b32 s2, s2, s14
	s_delay_alu instid0(SALU_CYCLE_1) | instskip(SKIP_1) | instid1(SALU_CYCLE_1)
	v_dual_mov_b32 v23, s3 :: v_dual_mov_b32 v22, s2
	s_and_b64 s[14:15], s[2:3], s[18:19]
	s_mul_u64 s[14:15], s[14:15], 24
	s_wait_loadcnt 0x0
	v_add_nc_u64_e32 v[20:21], s[14:15], v[18:19]
	global_store_b64 v[20:21], v[24:25], off
	global_wb scope:SCOPE_SYS
	s_wait_storecnt 0x0
	s_wait_xcnt 0x0
	global_atomic_cmpswap_b64 v[18:19], v1, v[22:25], s[12:13] offset:24 th:TH_ATOMIC_RETURN scope:SCOPE_SYS
	s_wait_loadcnt 0x0
	v_cmp_ne_u64_e32 vcc_lo, v[18:19], v[24:25]
	s_and_b32 exec_lo, exec_lo, vcc_lo
	s_cbranch_execz .LBB5_2
; %bb.1065:                             ;   in Loop: Header=BB5_3 Depth=1
	s_mov_b32 s14, 0
.LBB5_1066:                             ;   Parent Loop BB5_3 Depth=1
                                        ; =>  This Inner Loop Header: Depth=2
	v_dual_mov_b32 v16, s2 :: v_dual_mov_b32 v17, s3
	s_sleep 1
	global_store_b64 v[20:21], v[18:19], off
	global_wb scope:SCOPE_SYS
	s_wait_storecnt 0x0
	s_wait_xcnt 0x0
	global_atomic_cmpswap_b64 v[16:17], v1, v[16:19], s[12:13] offset:24 th:TH_ATOMIC_RETURN scope:SCOPE_SYS
	s_wait_loadcnt 0x0
	v_cmp_eq_u64_e32 vcc_lo, v[16:17], v[18:19]
	v_mov_b64_e32 v[18:19], v[16:17]
	s_or_b32 s14, vcc_lo, s14
	s_delay_alu instid0(SALU_CYCLE_1)
	s_and_not1_b32 exec_lo, exec_lo, s14
	s_cbranch_execnz .LBB5_1066
	s_branch .LBB5_2
.LBB5_1067:
	v_mov_b32_e32 v61, 0
.LBB5_1068:
	s_load_b64 s[0:1], s[0:1], 0x8
	s_wait_kmcnt 0x0
	global_store_b32 v39, v61, s[0:1] scale_offset
	s_endpgm
	.section	.rodata,"a",@progbits
	.p2align	6, 0x0
	.amdhsa_kernel _ZN19hipPrintfStressTest28kernel_dependent_calc_atomicEjPi
		.amdhsa_group_segment_fixed_size 0
		.amdhsa_private_segment_fixed_size 20
		.amdhsa_kernarg_size 272
		.amdhsa_user_sgpr_count 2
		.amdhsa_user_sgpr_dispatch_ptr 0
		.amdhsa_user_sgpr_queue_ptr 0
		.amdhsa_user_sgpr_kernarg_segment_ptr 1
		.amdhsa_user_sgpr_dispatch_id 0
		.amdhsa_user_sgpr_kernarg_preload_length 0
		.amdhsa_user_sgpr_kernarg_preload_offset 0
		.amdhsa_user_sgpr_private_segment_size 0
		.amdhsa_wavefront_size32 1
		.amdhsa_uses_dynamic_stack 0
		.amdhsa_enable_private_segment 1
		.amdhsa_system_sgpr_workgroup_id_x 1
		.amdhsa_system_sgpr_workgroup_id_y 0
		.amdhsa_system_sgpr_workgroup_id_z 0
		.amdhsa_system_sgpr_workgroup_info 0
		.amdhsa_system_vgpr_workitem_id 0
		.amdhsa_next_free_vgpr 62
		.amdhsa_next_free_sgpr 32
		.amdhsa_named_barrier_count 0
		.amdhsa_reserve_vcc 1
		.amdhsa_float_round_mode_32 0
		.amdhsa_float_round_mode_16_64 0
		.amdhsa_float_denorm_mode_32 3
		.amdhsa_float_denorm_mode_16_64 3
		.amdhsa_fp16_overflow 0
		.amdhsa_memory_ordered 1
		.amdhsa_forward_progress 1
		.amdhsa_inst_pref_size 255
		.amdhsa_round_robin_scheduling 0
		.amdhsa_exception_fp_ieee_invalid_op 0
		.amdhsa_exception_fp_denorm_src 0
		.amdhsa_exception_fp_ieee_div_zero 0
		.amdhsa_exception_fp_ieee_overflow 0
		.amdhsa_exception_fp_ieee_underflow 0
		.amdhsa_exception_fp_ieee_inexact 0
		.amdhsa_exception_int_div_zero 0
	.end_amdhsa_kernel
	.text
.Lfunc_end5:
	.size	_ZN19hipPrintfStressTest28kernel_dependent_calc_atomicEjPi, .Lfunc_end5-_ZN19hipPrintfStressTest28kernel_dependent_calc_atomicEjPi
                                        ; -- End function
	.set _ZN19hipPrintfStressTest28kernel_dependent_calc_atomicEjPi.num_vgpr, 62
	.set _ZN19hipPrintfStressTest28kernel_dependent_calc_atomicEjPi.num_agpr, 0
	.set _ZN19hipPrintfStressTest28kernel_dependent_calc_atomicEjPi.numbered_sgpr, 32
	.set _ZN19hipPrintfStressTest28kernel_dependent_calc_atomicEjPi.num_named_barrier, 0
	.set _ZN19hipPrintfStressTest28kernel_dependent_calc_atomicEjPi.private_seg_size, 20
	.set _ZN19hipPrintfStressTest28kernel_dependent_calc_atomicEjPi.uses_vcc, 1
	.set _ZN19hipPrintfStressTest28kernel_dependent_calc_atomicEjPi.uses_flat_scratch, 0
	.set _ZN19hipPrintfStressTest28kernel_dependent_calc_atomicEjPi.has_dyn_sized_stack, 0
	.set _ZN19hipPrintfStressTest28kernel_dependent_calc_atomicEjPi.has_recursion, 0
	.set _ZN19hipPrintfStressTest28kernel_dependent_calc_atomicEjPi.has_indirect_call, 0
	.section	.AMDGPU.csdata,"",@progbits
; Kernel info:
; codeLenInByte = 42804
; TotalNumSgprs: 34
; NumVgprs: 62
; ScratchSize: 20
; MemoryBound: 0
; FloatMode: 240
; IeeeMode: 1
; LDSByteSize: 0 bytes/workgroup (compile time only)
; SGPRBlocks: 0
; VGPRBlocks: 3
; NumSGPRsForWavesPerEU: 34
; NumVGPRsForWavesPerEU: 62
; NamedBarCnt: 0
; Occupancy: 16
; WaveLimiterHint : 1
; COMPUTE_PGM_RSRC2:SCRATCH_EN: 1
; COMPUTE_PGM_RSRC2:USER_SGPR: 2
; COMPUTE_PGM_RSRC2:TRAP_HANDLER: 0
; COMPUTE_PGM_RSRC2:TGID_X_EN: 1
; COMPUTE_PGM_RSRC2:TGID_Y_EN: 0
; COMPUTE_PGM_RSRC2:TGID_Z_EN: 0
; COMPUTE_PGM_RSRC2:TIDIG_COMP_CNT: 0
	.text
	.protected	_ZN19hipPrintfStressTest26kernel_decimal_calculationEji ; -- Begin function _ZN19hipPrintfStressTest26kernel_decimal_calculationEji
	.globl	_ZN19hipPrintfStressTest26kernel_decimal_calculationEji
	.p2align	8
	.type	_ZN19hipPrintfStressTest26kernel_decimal_calculationEji,@function
_ZN19hipPrintfStressTest26kernel_decimal_calculationEji: ; @_ZN19hipPrintfStressTest26kernel_decimal_calculationEji
; %bb.0:
	s_load_b64 s[2:3], s[0:1], 0x0
	s_wait_kmcnt 0x0
	s_cmp_lt_i32 s2, 1
	s_cbranch_scc1 .LBB6_350
; %bb.1:
	s_mov_b32 s4, 0
	v_dual_mov_b32 v1, 0 :: v_dual_mov_b32 v4, 33
	s_mov_b32 s6, s4
	s_mov_b32 s7, s4
	;; [unrolled: 1-line block ×3, first 2 shown]
	s_get_pc_i64 s[8:9]
	s_add_nc_u64 s[8:9], s[8:9], .str.9@rel64+4
	s_cmp_gt_i32 s3, -1
	v_mov_b64_e32 v[10:11], s[6:7]
	v_mov_b64_e32 v[8:9], s[4:5]
	;; [unrolled: 1-line block ×3, first 2 shown]
	s_get_pc_i64 s[10:11]
	s_add_nc_u64 s[10:11], s[10:11], .str.8@rel64+4
	s_cselect_b32 s26, -1, 0
	s_cmp_lg_u64 s[8:9], 0
	v_dual_mov_b32 v5, v1 :: v_dual_mov_b32 v6, v1
	v_dual_mov_b32 v7, v1 :: v_dual_mov_b32 v14, 0x54411744
	v_mov_b32_e32 v15, 0x400921fb
	v_mov_b32_e32 v18, 0x1cf5e000
	;; [unrolled: 1-line block ×3, first 2 shown]
	v_mbcnt_lo_u32_b32 v42, -1, 0
	s_cselect_b32 s27, -1, 0
	s_cmp_lg_u64 s[10:11], 0
	s_add_nc_u64 s[12:13], s[0:1], 8
	s_cselect_b32 s28, -1, 0
	s_mov_b32 s29, s4
	s_branch .LBB6_3
.LBB6_2:                                ;   in Loop: Header=BB6_3 Depth=1
	s_add_co_i32 s29, s29, 1
	s_delay_alu instid0(SALU_CYCLE_1)
	s_cmp_eq_u32 s29, s2
	s_cbranch_scc1 .LBB6_350
.LBB6_3:                                ; =>This Loop Header: Depth=1
                                        ;     Child Loop BB6_6 Depth 2
                                        ;       Child Loop BB6_9 Depth 3
                                        ;       Child Loop BB6_17 Depth 3
                                        ;       Child Loop BB6_26 Depth 3
                                        ;       Child Loop BB6_31 Depth 3
                                        ;       Child Loop BB6_194 Depth 3
                                        ;       Child Loop BB6_202 Depth 3
                                        ;       Child Loop BB6_211 Depth 3
                                        ;       Child Loop BB6_216 Depth 3
                                        ;       Child Loop BB6_35 Depth 3
                                        ;         Child Loop BB6_38 Depth 4
                                        ;         Child Loop BB6_45 Depth 4
	;; [unrolled: 1-line block ×11, first 2 shown]
                                        ;       Child Loop BB6_222 Depth 3
                                        ;       Child Loop BB6_230 Depth 3
                                        ;       Child Loop BB6_239 Depth 3
                                        ;       Child Loop BB6_244 Depth 3
                                        ;       Child Loop BB6_114 Depth 3
                                        ;         Child Loop BB6_117 Depth 4
                                        ;         Child Loop BB6_124 Depth 4
	;; [unrolled: 1-line block ×11, first 2 shown]
                                        ;       Child Loop BB6_249 Depth 3
                                        ;       Child Loop BB6_257 Depth 3
	;; [unrolled: 1-line block ×16, first 2 shown]
	s_and_not1_b32 vcc_lo, exec_lo, s26
	s_cbranch_vccnz .LBB6_2
; %bb.4:                                ;   in Loop: Header=BB6_3 Depth=1
	s_load_b64 s[14:15], s[12:13], 0x50
	v_dual_mov_b32 v47, v1 :: v_dual_lshlrev_b32 v44, 6, v42
	s_mov_b32 s30, 0
	s_delay_alu instid0(VALU_DEP_1)
	v_mov_b32_e32 v46, v44
	s_branch .LBB6_6
.LBB6_5:                                ;   in Loop: Header=BB6_6 Depth=2
	s_or_b32 exec_lo, exec_lo, s18
	s_add_co_i32 s0, s30, 1
	s_cmp_lg_u32 s30, s3
	s_mov_b32 s30, s0
	s_cbranch_scc0 .LBB6_2
.LBB6_6:                                ;   Parent Loop BB6_3 Depth=1
                                        ; =>  This Loop Header: Depth=2
                                        ;       Child Loop BB6_9 Depth 3
                                        ;       Child Loop BB6_17 Depth 3
	;; [unrolled: 1-line block ×9, first 2 shown]
                                        ;         Child Loop BB6_38 Depth 4
                                        ;         Child Loop BB6_45 Depth 4
	;; [unrolled: 1-line block ×11, first 2 shown]
                                        ;       Child Loop BB6_222 Depth 3
                                        ;       Child Loop BB6_230 Depth 3
	;; [unrolled: 1-line block ×5, first 2 shown]
                                        ;         Child Loop BB6_117 Depth 4
                                        ;         Child Loop BB6_124 Depth 4
	;; [unrolled: 1-line block ×11, first 2 shown]
                                        ;       Child Loop BB6_249 Depth 3
                                        ;       Child Loop BB6_257 Depth 3
	;; [unrolled: 1-line block ×16, first 2 shown]
	v_readfirstlane_b32 s0, v42
	v_mov_b64_e32 v[12:13], 0
	s_delay_alu instid0(VALU_DEP_2)
	v_cmp_eq_u32_e64 s0, s0, v42
	s_and_saveexec_b32 s1, s0
	s_cbranch_execz .LBB6_12
; %bb.7:                                ;   in Loop: Header=BB6_6 Depth=2
	s_wait_kmcnt 0x0
	global_load_b64 v[22:23], v1, s[14:15] offset:24 scope:SCOPE_SYS
	s_wait_loadcnt 0x0
	global_inv scope:SCOPE_SYS
	s_clause 0x1
	global_load_b64 v[12:13], v1, s[14:15] offset:40
	global_load_b64 v[16:17], v1, s[14:15]
	s_mov_b32 s16, exec_lo
	s_wait_loadcnt 0x1
	v_and_b32_e32 v12, v12, v22
	v_and_b32_e32 v13, v13, v23
	s_delay_alu instid0(VALU_DEP_1) | instskip(SKIP_1) | instid1(VALU_DEP_1)
	v_mul_u64_e32 v[12:13], 24, v[12:13]
	s_wait_loadcnt 0x0
	v_add_nc_u64_e32 v[12:13], v[16:17], v[12:13]
	global_load_b64 v[20:21], v[12:13], off scope:SCOPE_SYS
	s_wait_xcnt 0x0
	s_wait_loadcnt 0x0
	global_atomic_cmpswap_b64 v[12:13], v1, v[20:23], s[14:15] offset:24 th:TH_ATOMIC_RETURN scope:SCOPE_SYS
	s_wait_loadcnt 0x0
	global_inv scope:SCOPE_SYS
	s_wait_xcnt 0x0
	v_cmpx_ne_u64_e64 v[12:13], v[22:23]
	s_cbranch_execz .LBB6_11
; %bb.8:                                ;   in Loop: Header=BB6_6 Depth=2
	s_mov_b32 s17, 0
.LBB6_9:                                ;   Parent Loop BB6_3 Depth=1
                                        ;     Parent Loop BB6_6 Depth=2
                                        ; =>    This Inner Loop Header: Depth=3
	s_sleep 1
	s_clause 0x1
	global_load_b64 v[16:17], v1, s[14:15] offset:40
	global_load_b64 v[20:21], v1, s[14:15]
	v_mov_b64_e32 v[22:23], v[12:13]
	s_wait_loadcnt 0x1
	s_delay_alu instid0(VALU_DEP_1) | instskip(SKIP_1) | instid1(VALU_DEP_1)
	v_and_b32_e32 v0, v16, v22
	s_wait_loadcnt 0x0
	v_mad_nc_u64_u32 v[12:13], v0, 24, v[20:21]
	s_delay_alu instid0(VALU_DEP_3) | instskip(NEXT) | instid1(VALU_DEP_1)
	v_and_b32_e32 v0, v17, v23
	v_mad_u32 v13, v0, 24, v13
	global_load_b64 v[20:21], v[12:13], off scope:SCOPE_SYS
	s_wait_xcnt 0x0
	s_wait_loadcnt 0x0
	global_atomic_cmpswap_b64 v[12:13], v1, v[20:23], s[14:15] offset:24 th:TH_ATOMIC_RETURN scope:SCOPE_SYS
	s_wait_loadcnt 0x0
	global_inv scope:SCOPE_SYS
	v_cmp_eq_u64_e32 vcc_lo, v[12:13], v[22:23]
	s_or_b32 s17, vcc_lo, s17
	s_wait_xcnt 0x0
	s_and_not1_b32 exec_lo, exec_lo, s17
	s_cbranch_execnz .LBB6_9
; %bb.10:                               ;   in Loop: Header=BB6_6 Depth=2
	s_or_b32 exec_lo, exec_lo, s17
.LBB6_11:                               ;   in Loop: Header=BB6_6 Depth=2
	s_delay_alu instid0(SALU_CYCLE_1)
	s_or_b32 exec_lo, exec_lo, s16
.LBB6_12:                               ;   in Loop: Header=BB6_6 Depth=2
	s_delay_alu instid0(SALU_CYCLE_1)
	s_or_b32 exec_lo, exec_lo, s1
	s_wait_kmcnt 0x0
	s_clause 0x1
	global_load_b64 v[16:17], v1, s[14:15] offset:40
	global_load_b128 v[20:23], v1, s[14:15]
	v_readfirstlane_b32 s16, v12
	v_readfirstlane_b32 s17, v13
	s_mov_b32 s1, exec_lo
	s_wait_loadcnt 0x1
	v_and_b32_e32 v16, s16, v16
	v_and_b32_e32 v17, s17, v17
	s_delay_alu instid0(VALU_DEP_1) | instskip(SKIP_1) | instid1(VALU_DEP_1)
	v_mul_u64_e32 v[12:13], 24, v[16:17]
	s_wait_loadcnt 0x0
	v_add_nc_u64_e32 v[12:13], v[20:21], v[12:13]
	s_wait_xcnt 0x0
	s_and_saveexec_b32 s18, s0
	s_cbranch_execz .LBB6_14
; %bb.13:                               ;   in Loop: Header=BB6_6 Depth=2
	v_mov_b32_e32 v0, s1
	global_store_b128 v[12:13], v[0:3], off offset:8
.LBB6_14:                               ;   in Loop: Header=BB6_6 Depth=2
	s_wait_xcnt 0x0
	s_or_b32 exec_lo, exec_lo, s18
	v_lshlrev_b64_e32 v[16:17], 12, v[16:17]
	s_delay_alu instid0(VALU_DEP_1) | instskip(NEXT) | instid1(VALU_DEP_1)
	v_add_nc_u64_e32 v[16:17], v[22:23], v[16:17]
	v_readfirstlane_b32 s18, v16
	s_delay_alu instid0(VALU_DEP_2)
	v_readfirstlane_b32 s19, v17
	s_clause 0x3
	global_store_b128 v44, v[4:7], s[18:19]
	global_store_b128 v44, v[8:11], s[18:19] offset:16
	global_store_b128 v44, v[8:11], s[18:19] offset:32
	;; [unrolled: 1-line block ×3, first 2 shown]
	s_wait_xcnt 0x0
	s_and_saveexec_b32 s1, s0
	s_cbranch_execz .LBB6_22
; %bb.15:                               ;   in Loop: Header=BB6_6 Depth=2
	s_clause 0x1
	global_load_b64 v[28:29], v1, s[14:15] offset:32 scope:SCOPE_SYS
	global_load_b64 v[22:23], v1, s[14:15] offset:40
	s_mov_b32 s18, exec_lo
	v_dual_mov_b32 v26, s16 :: v_dual_mov_b32 v27, s17
	s_wait_loadcnt 0x0
	v_and_b32_e32 v23, s17, v23
	v_and_b32_e32 v22, s16, v22
	s_delay_alu instid0(VALU_DEP_1) | instskip(NEXT) | instid1(VALU_DEP_1)
	v_mul_u64_e32 v[22:23], 24, v[22:23]
	v_add_nc_u64_e32 v[24:25], v[20:21], v[22:23]
	global_store_b64 v[24:25], v[28:29], off
	global_wb scope:SCOPE_SYS
	s_wait_storecnt 0x0
	s_wait_xcnt 0x0
	global_atomic_cmpswap_b64 v[22:23], v1, v[26:29], s[14:15] offset:32 th:TH_ATOMIC_RETURN scope:SCOPE_SYS
	s_wait_loadcnt 0x0
	v_cmpx_ne_u64_e64 v[22:23], v[28:29]
	s_cbranch_execz .LBB6_18
; %bb.16:                               ;   in Loop: Header=BB6_6 Depth=2
	s_mov_b32 s19, 0
.LBB6_17:                               ;   Parent Loop BB6_3 Depth=1
                                        ;     Parent Loop BB6_6 Depth=2
                                        ; =>    This Inner Loop Header: Depth=3
	v_dual_mov_b32 v20, s16 :: v_dual_mov_b32 v21, s17
	s_sleep 1
	global_store_b64 v[24:25], v[22:23], off
	global_wb scope:SCOPE_SYS
	s_wait_storecnt 0x0
	s_wait_xcnt 0x0
	global_atomic_cmpswap_b64 v[20:21], v1, v[20:23], s[14:15] offset:32 th:TH_ATOMIC_RETURN scope:SCOPE_SYS
	s_wait_loadcnt 0x0
	v_cmp_eq_u64_e32 vcc_lo, v[20:21], v[22:23]
	v_mov_b64_e32 v[22:23], v[20:21]
	s_or_b32 s19, vcc_lo, s19
	s_delay_alu instid0(SALU_CYCLE_1)
	s_and_not1_b32 exec_lo, exec_lo, s19
	s_cbranch_execnz .LBB6_17
.LBB6_18:                               ;   in Loop: Header=BB6_6 Depth=2
	s_or_b32 exec_lo, exec_lo, s18
	global_load_b64 v[20:21], v1, s[14:15] offset:16
	s_mov_b32 s19, exec_lo
	s_mov_b32 s18, exec_lo
	v_mbcnt_lo_u32_b32 v0, s19, 0
	s_wait_xcnt 0x0
	s_delay_alu instid0(VALU_DEP_1)
	v_cmpx_eq_u32_e32 0, v0
	s_cbranch_execz .LBB6_20
; %bb.19:                               ;   in Loop: Header=BB6_6 Depth=2
	s_bcnt1_i32_b32 s19, s19
	s_delay_alu instid0(SALU_CYCLE_1)
	v_mov_b32_e32 v0, s19
	global_wb scope:SCOPE_SYS
	s_wait_loadcnt 0x0
	s_wait_storecnt 0x0
	global_atomic_add_u64 v[20:21], v[0:1], off offset:8 scope:SCOPE_SYS
.LBB6_20:                               ;   in Loop: Header=BB6_6 Depth=2
	s_wait_xcnt 0x0
	s_or_b32 exec_lo, exec_lo, s18
	s_wait_loadcnt 0x0
	global_load_b64 v[22:23], v[20:21], off offset:16
	s_wait_loadcnt 0x0
	v_cmp_eq_u64_e32 vcc_lo, 0, v[22:23]
	s_cbranch_vccnz .LBB6_22
; %bb.21:                               ;   in Loop: Header=BB6_6 Depth=2
	global_load_b32 v0, v[20:21], off offset:24
	s_wait_loadcnt 0x0
	v_readfirstlane_b32 s18, v0
	global_wb scope:SCOPE_SYS
	s_wait_storecnt 0x0
	s_wait_xcnt 0x0
	global_store_b64 v[22:23], v[0:1], off scope:SCOPE_SYS
	s_and_b32 m0, s18, 0xffffff
	s_sendmsg sendmsg(MSG_INTERRUPT)
.LBB6_22:                               ;   in Loop: Header=BB6_6 Depth=2
	s_wait_xcnt 0x0
	s_or_b32 exec_lo, exec_lo, s1
	v_add_nc_u64_e32 v[16:17], v[16:17], v[46:47]
	s_branch .LBB6_26
.LBB6_23:                               ;   in Loop: Header=BB6_26 Depth=3
	s_wait_xcnt 0x0
	s_or_b32 exec_lo, exec_lo, s1
	s_delay_alu instid0(VALU_DEP_1)
	v_readfirstlane_b32 s1, v0
	s_cmp_eq_u32 s1, 0
	s_cbranch_scc1 .LBB6_25
; %bb.24:                               ;   in Loop: Header=BB6_26 Depth=3
	s_sleep 1
	s_cbranch_execnz .LBB6_26
	s_branch .LBB6_28
.LBB6_25:                               ;   in Loop: Header=BB6_6 Depth=2
	s_branch .LBB6_28
.LBB6_26:                               ;   Parent Loop BB6_3 Depth=1
                                        ;     Parent Loop BB6_6 Depth=2
                                        ; =>    This Inner Loop Header: Depth=3
	v_mov_b32_e32 v0, 1
	s_and_saveexec_b32 s1, s0
	s_cbranch_execz .LBB6_23
; %bb.27:                               ;   in Loop: Header=BB6_26 Depth=3
	global_load_b32 v0, v[12:13], off offset:20 scope:SCOPE_SYS
	s_wait_loadcnt 0x0
	global_inv scope:SCOPE_SYS
	v_and_b32_e32 v0, 1, v0
	s_branch .LBB6_23
.LBB6_28:                               ;   in Loop: Header=BB6_6 Depth=2
	global_load_b64 v[24:25], v[16:17], off
	s_wait_xcnt 0x0
	s_and_saveexec_b32 s18, s0
	s_cbranch_execz .LBB6_32
; %bb.29:                               ;   in Loop: Header=BB6_6 Depth=2
	s_clause 0x2
	global_load_b64 v[12:13], v1, s[14:15] offset:40
	global_load_b64 v[28:29], v1, s[14:15] offset:24 scope:SCOPE_SYS
	global_load_b64 v[16:17], v1, s[14:15]
	s_wait_loadcnt 0x2
	v_readfirstlane_b32 s20, v12
	v_readfirstlane_b32 s21, v13
	s_add_nc_u64 s[0:1], s[20:21], 1
	s_delay_alu instid0(SALU_CYCLE_1) | instskip(NEXT) | instid1(SALU_CYCLE_1)
	s_add_nc_u64 s[16:17], s[0:1], s[16:17]
	s_cmp_eq_u64 s[16:17], 0
	s_cselect_b32 s1, s1, s17
	s_cselect_b32 s0, s0, s16
	s_delay_alu instid0(SALU_CYCLE_1) | instskip(SKIP_1) | instid1(SALU_CYCLE_1)
	v_dual_mov_b32 v27, s1 :: v_dual_mov_b32 v26, s0
	s_and_b64 s[16:17], s[0:1], s[20:21]
	s_mul_u64 s[16:17], s[16:17], 24
	s_wait_loadcnt 0x0
	v_add_nc_u64_e32 v[12:13], s[16:17], v[16:17]
	global_store_b64 v[12:13], v[28:29], off
	global_wb scope:SCOPE_SYS
	s_wait_storecnt 0x0
	s_wait_xcnt 0x0
	global_atomic_cmpswap_b64 v[22:23], v1, v[26:29], s[14:15] offset:24 th:TH_ATOMIC_RETURN scope:SCOPE_SYS
	s_wait_loadcnt 0x0
	v_cmp_ne_u64_e32 vcc_lo, v[22:23], v[28:29]
	s_and_b32 exec_lo, exec_lo, vcc_lo
	s_cbranch_execz .LBB6_32
; %bb.30:                               ;   in Loop: Header=BB6_6 Depth=2
	s_mov_b32 s16, 0
.LBB6_31:                               ;   Parent Loop BB6_3 Depth=1
                                        ;     Parent Loop BB6_6 Depth=2
                                        ; =>    This Inner Loop Header: Depth=3
	v_dual_mov_b32 v20, s0 :: v_dual_mov_b32 v21, s1
	s_sleep 1
	global_store_b64 v[12:13], v[22:23], off
	global_wb scope:SCOPE_SYS
	s_wait_storecnt 0x0
	s_wait_xcnt 0x0
	global_atomic_cmpswap_b64 v[16:17], v1, v[20:23], s[14:15] offset:24 th:TH_ATOMIC_RETURN scope:SCOPE_SYS
	s_wait_loadcnt 0x0
	v_cmp_eq_u64_e32 vcc_lo, v[16:17], v[22:23]
	v_mov_b64_e32 v[22:23], v[16:17]
	s_or_b32 s16, vcc_lo, s16
	s_delay_alu instid0(SALU_CYCLE_1)
	s_and_not1_b32 exec_lo, exec_lo, s16
	s_cbranch_execnz .LBB6_31
.LBB6_32:                               ;   in Loop: Header=BB6_6 Depth=2
	s_or_b32 exec_lo, exec_lo, s18
	s_delay_alu instid0(SALU_CYCLE_1)
	s_and_b32 vcc_lo, exec_lo, s27
	s_cbranch_vccz .LBB6_190
; %bb.33:                               ;   in Loop: Header=BB6_6 Depth=2
	s_wait_loadcnt 0x0
	v_dual_mov_b32 v21, v25 :: v_dual_bitop2_b32 v12, 2, v24 bitop3:0x40
	v_and_b32_e32 v20, -3, v24
	s_mov_b64 s[16:17], 13
	s_mov_b64 s[18:19], s[8:9]
	s_branch .LBB6_35
.LBB6_34:                               ;   in Loop: Header=BB6_35 Depth=3
	s_or_b32 exec_lo, exec_lo, s24
	s_sub_nc_u64 s[16:17], s[16:17], s[20:21]
	s_add_nc_u64 s[18:19], s[18:19], s[20:21]
	s_cmp_lg_u64 s[16:17], 0
	s_cbranch_scc0 .LBB6_110
.LBB6_35:                               ;   Parent Loop BB6_3 Depth=1
                                        ;     Parent Loop BB6_6 Depth=2
                                        ; =>    This Loop Header: Depth=3
                                        ;         Child Loop BB6_38 Depth 4
                                        ;         Child Loop BB6_45 Depth 4
	;; [unrolled: 1-line block ×11, first 2 shown]
	v_min_u64 v[16:17], s[16:17], 56
	v_cmp_gt_u64_e64 s0, s[16:17], 7
	s_and_b32 vcc_lo, exec_lo, s0
	v_readfirstlane_b32 s20, v16
	v_readfirstlane_b32 s21, v17
	s_cbranch_vccnz .LBB6_40
; %bb.36:                               ;   in Loop: Header=BB6_35 Depth=3
	v_mov_b64_e32 v[22:23], 0
	s_cmp_eq_u64 s[16:17], 0
	s_cbranch_scc1 .LBB6_39
; %bb.37:                               ;   in Loop: Header=BB6_35 Depth=3
	s_mov_b64 s[0:1], 0
	s_mov_b64 s[22:23], 0
.LBB6_38:                               ;   Parent Loop BB6_3 Depth=1
                                        ;     Parent Loop BB6_6 Depth=2
                                        ;       Parent Loop BB6_35 Depth=3
                                        ; =>      This Inner Loop Header: Depth=4
	s_wait_xcnt 0x0
	s_add_nc_u64 s[24:25], s[18:19], s[22:23]
	s_add_nc_u64 s[22:23], s[22:23], 1
	global_load_u8 v0, v1, s[24:25]
	s_cmp_lg_u32 s20, s22
	s_wait_loadcnt 0x0
	v_and_b32_e32 v0, 0xffff, v0
	s_delay_alu instid0(VALU_DEP_1) | instskip(SKIP_1) | instid1(VALU_DEP_1)
	v_lshlrev_b64_e32 v[16:17], s0, v[0:1]
	s_add_nc_u64 s[0:1], s[0:1], 8
	v_or_b32_e32 v22, v16, v22
	s_delay_alu instid0(VALU_DEP_2)
	v_or_b32_e32 v23, v17, v23
	s_cbranch_scc1 .LBB6_38
.LBB6_39:                               ;   in Loop: Header=BB6_35 Depth=3
	s_mov_b64 s[0:1], s[18:19]
	s_mov_b32 s31, 0
	s_cbranch_execz .LBB6_41
	s_branch .LBB6_42
.LBB6_40:                               ;   in Loop: Header=BB6_35 Depth=3
	s_add_nc_u64 s[0:1], s[18:19], 8
	s_mov_b32 s31, 0
.LBB6_41:                               ;   in Loop: Header=BB6_35 Depth=3
	global_load_b64 v[22:23], v1, s[18:19]
	s_add_co_i32 s31, s20, -8
.LBB6_42:                               ;   in Loop: Header=BB6_35 Depth=3
	s_delay_alu instid0(SALU_CYCLE_1)
	s_cmp_gt_u32 s31, 7
	s_cbranch_scc1 .LBB6_47
; %bb.43:                               ;   in Loop: Header=BB6_35 Depth=3
	v_mov_b64_e32 v[26:27], 0
	s_cmp_eq_u32 s31, 0
	s_cbranch_scc1 .LBB6_46
; %bb.44:                               ;   in Loop: Header=BB6_35 Depth=3
	s_mov_b64 s[22:23], 0
	s_wait_xcnt 0x0
	s_mov_b64 s[24:25], 0
.LBB6_45:                               ;   Parent Loop BB6_3 Depth=1
                                        ;     Parent Loop BB6_6 Depth=2
                                        ;       Parent Loop BB6_35 Depth=3
                                        ; =>      This Inner Loop Header: Depth=4
	s_wait_xcnt 0x0
	s_add_nc_u64 s[34:35], s[0:1], s[24:25]
	s_add_nc_u64 s[24:25], s[24:25], 1
	global_load_u8 v0, v1, s[34:35]
	s_cmp_lg_u32 s31, s24
	s_wait_loadcnt 0x0
	v_and_b32_e32 v0, 0xffff, v0
	s_delay_alu instid0(VALU_DEP_1) | instskip(SKIP_1) | instid1(VALU_DEP_1)
	v_lshlrev_b64_e32 v[16:17], s22, v[0:1]
	s_add_nc_u64 s[22:23], s[22:23], 8
	v_or_b32_e32 v26, v16, v26
	s_delay_alu instid0(VALU_DEP_2)
	v_or_b32_e32 v27, v17, v27
	s_cbranch_scc1 .LBB6_45
.LBB6_46:                               ;   in Loop: Header=BB6_35 Depth=3
	s_wait_xcnt 0x0
	s_mov_b64 s[22:23], s[0:1]
	s_mov_b32 s33, 0
	s_cbranch_execz .LBB6_48
	s_branch .LBB6_49
.LBB6_47:                               ;   in Loop: Header=BB6_35 Depth=3
	s_add_nc_u64 s[22:23], s[0:1], 8
	s_wait_xcnt 0x0
                                        ; implicit-def: $vgpr26_vgpr27
	s_mov_b32 s33, 0
.LBB6_48:                               ;   in Loop: Header=BB6_35 Depth=3
	global_load_b64 v[26:27], v1, s[0:1]
	s_add_co_i32 s33, s31, -8
.LBB6_49:                               ;   in Loop: Header=BB6_35 Depth=3
	s_delay_alu instid0(SALU_CYCLE_1)
	s_cmp_gt_u32 s33, 7
	s_cbranch_scc1 .LBB6_54
; %bb.50:                               ;   in Loop: Header=BB6_35 Depth=3
	v_mov_b64_e32 v[28:29], 0
	s_cmp_eq_u32 s33, 0
	s_cbranch_scc1 .LBB6_53
; %bb.51:                               ;   in Loop: Header=BB6_35 Depth=3
	s_wait_xcnt 0x0
	s_mov_b64 s[0:1], 0
	s_mov_b64 s[24:25], 0
.LBB6_52:                               ;   Parent Loop BB6_3 Depth=1
                                        ;     Parent Loop BB6_6 Depth=2
                                        ;       Parent Loop BB6_35 Depth=3
                                        ; =>      This Inner Loop Header: Depth=4
	s_wait_xcnt 0x0
	s_add_nc_u64 s[34:35], s[22:23], s[24:25]
	s_add_nc_u64 s[24:25], s[24:25], 1
	global_load_u8 v0, v1, s[34:35]
	s_cmp_lg_u32 s33, s24
	s_wait_loadcnt 0x0
	v_and_b32_e32 v0, 0xffff, v0
	s_delay_alu instid0(VALU_DEP_1) | instskip(SKIP_1) | instid1(VALU_DEP_1)
	v_lshlrev_b64_e32 v[16:17], s0, v[0:1]
	s_add_nc_u64 s[0:1], s[0:1], 8
	v_or_b32_e32 v28, v16, v28
	s_delay_alu instid0(VALU_DEP_2)
	v_or_b32_e32 v29, v17, v29
	s_cbranch_scc1 .LBB6_52
.LBB6_53:                               ;   in Loop: Header=BB6_35 Depth=3
	s_wait_xcnt 0x0
	s_mov_b64 s[0:1], s[22:23]
	s_mov_b32 s31, 0
	s_cbranch_execz .LBB6_55
	s_branch .LBB6_56
.LBB6_54:                               ;   in Loop: Header=BB6_35 Depth=3
	s_wait_xcnt 0x0
	s_add_nc_u64 s[0:1], s[22:23], 8
	s_mov_b32 s31, 0
.LBB6_55:                               ;   in Loop: Header=BB6_35 Depth=3
	global_load_b64 v[28:29], v1, s[22:23]
	s_add_co_i32 s31, s33, -8
.LBB6_56:                               ;   in Loop: Header=BB6_35 Depth=3
	s_delay_alu instid0(SALU_CYCLE_1)
	s_cmp_gt_u32 s31, 7
	s_cbranch_scc1 .LBB6_61
; %bb.57:                               ;   in Loop: Header=BB6_35 Depth=3
	v_mov_b64_e32 v[30:31], 0
	s_cmp_eq_u32 s31, 0
	s_cbranch_scc1 .LBB6_60
; %bb.58:                               ;   in Loop: Header=BB6_35 Depth=3
	s_wait_xcnt 0x0
	s_mov_b64 s[22:23], 0
	s_mov_b64 s[24:25], 0
.LBB6_59:                               ;   Parent Loop BB6_3 Depth=1
                                        ;     Parent Loop BB6_6 Depth=2
                                        ;       Parent Loop BB6_35 Depth=3
                                        ; =>      This Inner Loop Header: Depth=4
	s_wait_xcnt 0x0
	s_add_nc_u64 s[34:35], s[0:1], s[24:25]
	s_add_nc_u64 s[24:25], s[24:25], 1
	global_load_u8 v0, v1, s[34:35]
	s_cmp_lg_u32 s31, s24
	s_wait_loadcnt 0x0
	v_and_b32_e32 v0, 0xffff, v0
	s_delay_alu instid0(VALU_DEP_1) | instskip(SKIP_1) | instid1(VALU_DEP_1)
	v_lshlrev_b64_e32 v[16:17], s22, v[0:1]
	s_add_nc_u64 s[22:23], s[22:23], 8
	v_or_b32_e32 v30, v16, v30
	s_delay_alu instid0(VALU_DEP_2)
	v_or_b32_e32 v31, v17, v31
	s_cbranch_scc1 .LBB6_59
.LBB6_60:                               ;   in Loop: Header=BB6_35 Depth=3
	s_wait_xcnt 0x0
	s_mov_b64 s[22:23], s[0:1]
	s_mov_b32 s33, 0
	s_cbranch_execz .LBB6_62
	s_branch .LBB6_63
.LBB6_61:                               ;   in Loop: Header=BB6_35 Depth=3
	s_wait_xcnt 0x0
	s_add_nc_u64 s[22:23], s[0:1], 8
                                        ; implicit-def: $vgpr30_vgpr31
	s_mov_b32 s33, 0
.LBB6_62:                               ;   in Loop: Header=BB6_35 Depth=3
	global_load_b64 v[30:31], v1, s[0:1]
	s_add_co_i32 s33, s31, -8
.LBB6_63:                               ;   in Loop: Header=BB6_35 Depth=3
	s_delay_alu instid0(SALU_CYCLE_1)
	s_cmp_gt_u32 s33, 7
	s_cbranch_scc1 .LBB6_68
; %bb.64:                               ;   in Loop: Header=BB6_35 Depth=3
	v_mov_b64_e32 v[32:33], 0
	s_cmp_eq_u32 s33, 0
	s_cbranch_scc1 .LBB6_67
; %bb.65:                               ;   in Loop: Header=BB6_35 Depth=3
	s_wait_xcnt 0x0
	s_mov_b64 s[0:1], 0
	s_mov_b64 s[24:25], 0
.LBB6_66:                               ;   Parent Loop BB6_3 Depth=1
                                        ;     Parent Loop BB6_6 Depth=2
                                        ;       Parent Loop BB6_35 Depth=3
                                        ; =>      This Inner Loop Header: Depth=4
	s_wait_xcnt 0x0
	s_add_nc_u64 s[34:35], s[22:23], s[24:25]
	s_add_nc_u64 s[24:25], s[24:25], 1
	global_load_u8 v0, v1, s[34:35]
	s_cmp_lg_u32 s33, s24
	s_wait_loadcnt 0x0
	v_and_b32_e32 v0, 0xffff, v0
	s_delay_alu instid0(VALU_DEP_1) | instskip(SKIP_1) | instid1(VALU_DEP_1)
	v_lshlrev_b64_e32 v[16:17], s0, v[0:1]
	s_add_nc_u64 s[0:1], s[0:1], 8
	v_or_b32_e32 v32, v16, v32
	s_delay_alu instid0(VALU_DEP_2)
	v_or_b32_e32 v33, v17, v33
	s_cbranch_scc1 .LBB6_66
.LBB6_67:                               ;   in Loop: Header=BB6_35 Depth=3
	s_wait_xcnt 0x0
	s_mov_b64 s[0:1], s[22:23]
	s_mov_b32 s31, 0
	s_cbranch_execz .LBB6_69
	s_branch .LBB6_70
.LBB6_68:                               ;   in Loop: Header=BB6_35 Depth=3
	s_wait_xcnt 0x0
	s_add_nc_u64 s[0:1], s[22:23], 8
	s_mov_b32 s31, 0
.LBB6_69:                               ;   in Loop: Header=BB6_35 Depth=3
	global_load_b64 v[32:33], v1, s[22:23]
	s_add_co_i32 s31, s33, -8
.LBB6_70:                               ;   in Loop: Header=BB6_35 Depth=3
	s_delay_alu instid0(SALU_CYCLE_1)
	s_cmp_gt_u32 s31, 7
	s_cbranch_scc1 .LBB6_75
; %bb.71:                               ;   in Loop: Header=BB6_35 Depth=3
	v_mov_b64_e32 v[34:35], 0
	s_cmp_eq_u32 s31, 0
	s_cbranch_scc1 .LBB6_74
; %bb.72:                               ;   in Loop: Header=BB6_35 Depth=3
	s_wait_xcnt 0x0
	s_mov_b64 s[22:23], 0
	s_mov_b64 s[24:25], 0
.LBB6_73:                               ;   Parent Loop BB6_3 Depth=1
                                        ;     Parent Loop BB6_6 Depth=2
                                        ;       Parent Loop BB6_35 Depth=3
                                        ; =>      This Inner Loop Header: Depth=4
	s_wait_xcnt 0x0
	s_add_nc_u64 s[34:35], s[0:1], s[24:25]
	s_add_nc_u64 s[24:25], s[24:25], 1
	global_load_u8 v0, v1, s[34:35]
	s_cmp_lg_u32 s31, s24
	s_wait_loadcnt 0x0
	v_and_b32_e32 v0, 0xffff, v0
	s_delay_alu instid0(VALU_DEP_1) | instskip(SKIP_1) | instid1(VALU_DEP_1)
	v_lshlrev_b64_e32 v[16:17], s22, v[0:1]
	s_add_nc_u64 s[22:23], s[22:23], 8
	v_or_b32_e32 v34, v16, v34
	s_delay_alu instid0(VALU_DEP_2)
	v_or_b32_e32 v35, v17, v35
	s_cbranch_scc1 .LBB6_73
.LBB6_74:                               ;   in Loop: Header=BB6_35 Depth=3
	s_wait_xcnt 0x0
	s_mov_b64 s[22:23], s[0:1]
	s_mov_b32 s33, 0
	s_cbranch_execz .LBB6_76
	s_branch .LBB6_77
.LBB6_75:                               ;   in Loop: Header=BB6_35 Depth=3
	s_wait_xcnt 0x0
	s_add_nc_u64 s[22:23], s[0:1], 8
                                        ; implicit-def: $vgpr34_vgpr35
	s_mov_b32 s33, 0
.LBB6_76:                               ;   in Loop: Header=BB6_35 Depth=3
	global_load_b64 v[34:35], v1, s[0:1]
	s_add_co_i32 s33, s31, -8
.LBB6_77:                               ;   in Loop: Header=BB6_35 Depth=3
	s_delay_alu instid0(SALU_CYCLE_1)
	s_cmp_gt_u32 s33, 7
	s_cbranch_scc1 .LBB6_82
; %bb.78:                               ;   in Loop: Header=BB6_35 Depth=3
	v_mov_b64_e32 v[36:37], 0
	s_cmp_eq_u32 s33, 0
	s_cbranch_scc1 .LBB6_81
; %bb.79:                               ;   in Loop: Header=BB6_35 Depth=3
	s_wait_xcnt 0x0
	s_mov_b64 s[0:1], 0
	s_mov_b64 s[24:25], s[22:23]
.LBB6_80:                               ;   Parent Loop BB6_3 Depth=1
                                        ;     Parent Loop BB6_6 Depth=2
                                        ;       Parent Loop BB6_35 Depth=3
                                        ; =>      This Inner Loop Header: Depth=4
	global_load_u8 v0, v1, s[24:25]
	s_add_co_i32 s33, s33, -1
	s_wait_xcnt 0x0
	s_add_nc_u64 s[24:25], s[24:25], 1
	s_cmp_lg_u32 s33, 0
	s_wait_loadcnt 0x0
	v_and_b32_e32 v0, 0xffff, v0
	s_delay_alu instid0(VALU_DEP_1) | instskip(SKIP_1) | instid1(VALU_DEP_1)
	v_lshlrev_b64_e32 v[16:17], s0, v[0:1]
	s_add_nc_u64 s[0:1], s[0:1], 8
	v_or_b32_e32 v36, v16, v36
	s_delay_alu instid0(VALU_DEP_2)
	v_or_b32_e32 v37, v17, v37
	s_cbranch_scc1 .LBB6_80
.LBB6_81:                               ;   in Loop: Header=BB6_35 Depth=3
	s_wait_xcnt 0x0
	s_cbranch_execz .LBB6_83
	s_branch .LBB6_84
.LBB6_82:                               ;   in Loop: Header=BB6_35 Depth=3
	s_wait_xcnt 0x0
.LBB6_83:                               ;   in Loop: Header=BB6_35 Depth=3
	global_load_b64 v[36:37], v1, s[22:23]
.LBB6_84:                               ;   in Loop: Header=BB6_35 Depth=3
	v_readfirstlane_b32 s0, v42
	v_mov_b64_e32 v[16:17], 0
	s_delay_alu instid0(VALU_DEP_2)
	v_cmp_eq_u32_e64 s0, s0, v42
	s_wait_xcnt 0x0
	s_and_saveexec_b32 s1, s0
	s_cbranch_execz .LBB6_90
; %bb.85:                               ;   in Loop: Header=BB6_35 Depth=3
	global_load_b64 v[40:41], v1, s[14:15] offset:24 scope:SCOPE_SYS
	s_wait_loadcnt 0x0
	global_inv scope:SCOPE_SYS
	s_clause 0x1
	global_load_b64 v[16:17], v1, s[14:15] offset:40
	global_load_b64 v[38:39], v1, s[14:15]
	s_mov_b32 s22, exec_lo
	s_wait_loadcnt 0x1
	v_and_b32_e32 v16, v16, v40
	v_and_b32_e32 v17, v17, v41
	s_delay_alu instid0(VALU_DEP_1) | instskip(SKIP_1) | instid1(VALU_DEP_1)
	v_mul_u64_e32 v[16:17], 24, v[16:17]
	s_wait_loadcnt 0x0
	v_add_nc_u64_e32 v[16:17], v[38:39], v[16:17]
	global_load_b64 v[38:39], v[16:17], off scope:SCOPE_SYS
	s_wait_xcnt 0x0
	s_wait_loadcnt 0x0
	global_atomic_cmpswap_b64 v[16:17], v1, v[38:41], s[14:15] offset:24 th:TH_ATOMIC_RETURN scope:SCOPE_SYS
	s_wait_loadcnt 0x0
	global_inv scope:SCOPE_SYS
	s_wait_xcnt 0x0
	v_cmpx_ne_u64_e64 v[16:17], v[40:41]
	s_cbranch_execz .LBB6_89
; %bb.86:                               ;   in Loop: Header=BB6_35 Depth=3
	s_mov_b32 s23, 0
.LBB6_87:                               ;   Parent Loop BB6_3 Depth=1
                                        ;     Parent Loop BB6_6 Depth=2
                                        ;       Parent Loop BB6_35 Depth=3
                                        ; =>      This Inner Loop Header: Depth=4
	s_sleep 1
	s_clause 0x1
	global_load_b64 v[38:39], v1, s[14:15] offset:40
	global_load_b64 v[48:49], v1, s[14:15]
	v_mov_b64_e32 v[40:41], v[16:17]
	s_wait_loadcnt 0x1
	s_delay_alu instid0(VALU_DEP_1) | instskip(SKIP_1) | instid1(VALU_DEP_1)
	v_and_b32_e32 v0, v38, v40
	s_wait_loadcnt 0x0
	v_mad_nc_u64_u32 v[16:17], v0, 24, v[48:49]
	s_delay_alu instid0(VALU_DEP_3) | instskip(NEXT) | instid1(VALU_DEP_1)
	v_and_b32_e32 v0, v39, v41
	v_mad_u32 v17, v0, 24, v17
	global_load_b64 v[38:39], v[16:17], off scope:SCOPE_SYS
	s_wait_xcnt 0x0
	s_wait_loadcnt 0x0
	global_atomic_cmpswap_b64 v[16:17], v1, v[38:41], s[14:15] offset:24 th:TH_ATOMIC_RETURN scope:SCOPE_SYS
	s_wait_loadcnt 0x0
	global_inv scope:SCOPE_SYS
	v_cmp_eq_u64_e32 vcc_lo, v[16:17], v[40:41]
	s_or_b32 s23, vcc_lo, s23
	s_wait_xcnt 0x0
	s_and_not1_b32 exec_lo, exec_lo, s23
	s_cbranch_execnz .LBB6_87
; %bb.88:                               ;   in Loop: Header=BB6_35 Depth=3
	s_or_b32 exec_lo, exec_lo, s23
.LBB6_89:                               ;   in Loop: Header=BB6_35 Depth=3
	s_delay_alu instid0(SALU_CYCLE_1)
	s_or_b32 exec_lo, exec_lo, s22
.LBB6_90:                               ;   in Loop: Header=BB6_35 Depth=3
	s_delay_alu instid0(SALU_CYCLE_1)
	s_or_b32 exec_lo, exec_lo, s1
	s_clause 0x1
	global_load_b64 v[48:49], v1, s[14:15] offset:40
	global_load_b128 v[38:41], v1, s[14:15]
	v_readfirstlane_b32 s22, v16
	v_readfirstlane_b32 s23, v17
	s_mov_b32 s1, exec_lo
	s_wait_loadcnt 0x1
	v_and_b32_e32 v48, s22, v48
	v_and_b32_e32 v49, s23, v49
	s_delay_alu instid0(VALU_DEP_1) | instskip(SKIP_1) | instid1(VALU_DEP_1)
	v_mul_u64_e32 v[16:17], 24, v[48:49]
	s_wait_loadcnt 0x0
	v_add_nc_u64_e32 v[16:17], v[38:39], v[16:17]
	s_wait_xcnt 0x0
	s_and_saveexec_b32 s24, s0
	s_cbranch_execz .LBB6_92
; %bb.91:                               ;   in Loop: Header=BB6_35 Depth=3
	v_mov_b32_e32 v0, s1
	global_store_b128 v[16:17], v[0:3], off offset:8
.LBB6_92:                               ;   in Loop: Header=BB6_35 Depth=3
	s_wait_xcnt 0x0
	s_or_b32 exec_lo, exec_lo, s24
	v_cmp_lt_u64_e64 vcc_lo, s[16:17], 57
	v_lshlrev_b64_e32 v[48:49], 12, v[48:49]
	v_and_b32_e32 v13, 0xffffff1f, v20
	s_lshl_b32 s1, s20, 2
	s_delay_alu instid0(SALU_CYCLE_1) | instskip(SKIP_1) | instid1(VALU_DEP_3)
	s_add_co_i32 s1, s1, 28
	v_cndmask_b32_e32 v0, 0, v12, vcc_lo
	v_add_nc_u64_e32 v[40:41], v[40:41], v[48:49]
	s_delay_alu instid0(VALU_DEP_2) | instskip(NEXT) | instid1(VALU_DEP_2)
	v_or_b32_e32 v0, v13, v0
	v_readfirstlane_b32 s24, v40
	s_delay_alu instid0(VALU_DEP_3) | instskip(NEXT) | instid1(VALU_DEP_3)
	v_readfirstlane_b32 s25, v41
	v_and_or_b32 v20, 0x1e0, s1, v0
	s_clause 0x3
	global_store_b128 v44, v[20:23], s[24:25]
	global_store_b128 v44, v[26:29], s[24:25] offset:16
	global_store_b128 v44, v[30:33], s[24:25] offset:32
	;; [unrolled: 1-line block ×3, first 2 shown]
	s_wait_xcnt 0x0
	s_and_saveexec_b32 s1, s0
	s_cbranch_execz .LBB6_100
; %bb.93:                               ;   in Loop: Header=BB6_35 Depth=3
	s_clause 0x1
	global_load_b64 v[30:31], v1, s[14:15] offset:32 scope:SCOPE_SYS
	global_load_b64 v[20:21], v1, s[14:15] offset:40
	s_mov_b32 s24, exec_lo
	v_dual_mov_b32 v28, s22 :: v_dual_mov_b32 v29, s23
	s_wait_loadcnt 0x0
	v_and_b32_e32 v21, s23, v21
	v_and_b32_e32 v20, s22, v20
	s_delay_alu instid0(VALU_DEP_1) | instskip(NEXT) | instid1(VALU_DEP_1)
	v_mul_u64_e32 v[20:21], 24, v[20:21]
	v_add_nc_u64_e32 v[26:27], v[38:39], v[20:21]
	global_store_b64 v[26:27], v[30:31], off
	global_wb scope:SCOPE_SYS
	s_wait_storecnt 0x0
	s_wait_xcnt 0x0
	global_atomic_cmpswap_b64 v[22:23], v1, v[28:31], s[14:15] offset:32 th:TH_ATOMIC_RETURN scope:SCOPE_SYS
	s_wait_loadcnt 0x0
	v_cmpx_ne_u64_e64 v[22:23], v[30:31]
	s_cbranch_execz .LBB6_96
; %bb.94:                               ;   in Loop: Header=BB6_35 Depth=3
	s_mov_b32 s25, 0
.LBB6_95:                               ;   Parent Loop BB6_3 Depth=1
                                        ;     Parent Loop BB6_6 Depth=2
                                        ;       Parent Loop BB6_35 Depth=3
                                        ; =>      This Inner Loop Header: Depth=4
	v_dual_mov_b32 v20, s22 :: v_dual_mov_b32 v21, s23
	s_sleep 1
	global_store_b64 v[26:27], v[22:23], off
	global_wb scope:SCOPE_SYS
	s_wait_storecnt 0x0
	s_wait_xcnt 0x0
	global_atomic_cmpswap_b64 v[20:21], v1, v[20:23], s[14:15] offset:32 th:TH_ATOMIC_RETURN scope:SCOPE_SYS
	s_wait_loadcnt 0x0
	v_cmp_eq_u64_e32 vcc_lo, v[20:21], v[22:23]
	v_mov_b64_e32 v[22:23], v[20:21]
	s_or_b32 s25, vcc_lo, s25
	s_delay_alu instid0(SALU_CYCLE_1)
	s_and_not1_b32 exec_lo, exec_lo, s25
	s_cbranch_execnz .LBB6_95
.LBB6_96:                               ;   in Loop: Header=BB6_35 Depth=3
	s_or_b32 exec_lo, exec_lo, s24
	global_load_b64 v[20:21], v1, s[14:15] offset:16
	s_mov_b32 s25, exec_lo
	s_mov_b32 s24, exec_lo
	v_mbcnt_lo_u32_b32 v0, s25, 0
	s_wait_xcnt 0x0
	s_delay_alu instid0(VALU_DEP_1)
	v_cmpx_eq_u32_e32 0, v0
	s_cbranch_execz .LBB6_98
; %bb.97:                               ;   in Loop: Header=BB6_35 Depth=3
	s_bcnt1_i32_b32 s25, s25
	s_delay_alu instid0(SALU_CYCLE_1)
	v_mov_b32_e32 v0, s25
	global_wb scope:SCOPE_SYS
	s_wait_loadcnt 0x0
	s_wait_storecnt 0x0
	global_atomic_add_u64 v[20:21], v[0:1], off offset:8 scope:SCOPE_SYS
.LBB6_98:                               ;   in Loop: Header=BB6_35 Depth=3
	s_wait_xcnt 0x0
	s_or_b32 exec_lo, exec_lo, s24
	s_wait_loadcnt 0x0
	global_load_b64 v[22:23], v[20:21], off offset:16
	s_wait_loadcnt 0x0
	v_cmp_eq_u64_e32 vcc_lo, 0, v[22:23]
	s_cbranch_vccnz .LBB6_100
; %bb.99:                               ;   in Loop: Header=BB6_35 Depth=3
	global_load_b32 v0, v[20:21], off offset:24
	s_wait_loadcnt 0x0
	v_readfirstlane_b32 s24, v0
	global_wb scope:SCOPE_SYS
	s_wait_storecnt 0x0
	s_wait_xcnt 0x0
	global_store_b64 v[22:23], v[0:1], off scope:SCOPE_SYS
	s_and_b32 m0, s24, 0xffffff
	s_sendmsg sendmsg(MSG_INTERRUPT)
.LBB6_100:                              ;   in Loop: Header=BB6_35 Depth=3
	s_wait_xcnt 0x0
	s_or_b32 exec_lo, exec_lo, s1
	v_mov_b32_e32 v45, v1
	s_delay_alu instid0(VALU_DEP_1)
	v_add_nc_u64_e32 v[20:21], v[40:41], v[44:45]
	s_branch .LBB6_104
.LBB6_101:                              ;   in Loop: Header=BB6_104 Depth=4
	s_wait_xcnt 0x0
	s_or_b32 exec_lo, exec_lo, s1
	s_delay_alu instid0(VALU_DEP_1)
	v_readfirstlane_b32 s1, v0
	s_cmp_eq_u32 s1, 0
	s_cbranch_scc1 .LBB6_103
; %bb.102:                              ;   in Loop: Header=BB6_104 Depth=4
	s_sleep 1
	s_cbranch_execnz .LBB6_104
	s_branch .LBB6_106
.LBB6_103:                              ;   in Loop: Header=BB6_35 Depth=3
	s_branch .LBB6_106
.LBB6_104:                              ;   Parent Loop BB6_3 Depth=1
                                        ;     Parent Loop BB6_6 Depth=2
                                        ;       Parent Loop BB6_35 Depth=3
                                        ; =>      This Inner Loop Header: Depth=4
	v_mov_b32_e32 v0, 1
	s_and_saveexec_b32 s1, s0
	s_cbranch_execz .LBB6_101
; %bb.105:                              ;   in Loop: Header=BB6_104 Depth=4
	global_load_b32 v0, v[16:17], off offset:20 scope:SCOPE_SYS
	s_wait_loadcnt 0x0
	global_inv scope:SCOPE_SYS
	v_and_b32_e32 v0, 1, v0
	s_branch .LBB6_101
.LBB6_106:                              ;   in Loop: Header=BB6_35 Depth=3
	global_load_b64 v[20:21], v[20:21], off
	s_wait_xcnt 0x0
	s_and_saveexec_b32 s24, s0
	s_cbranch_execz .LBB6_34
; %bb.107:                              ;   in Loop: Header=BB6_35 Depth=3
	s_clause 0x2
	global_load_b64 v[16:17], v1, s[14:15] offset:40
	global_load_b64 v[30:31], v1, s[14:15] offset:24 scope:SCOPE_SYS
	global_load_b64 v[22:23], v1, s[14:15]
	s_wait_loadcnt 0x2
	v_readfirstlane_b32 s34, v16
	v_readfirstlane_b32 s35, v17
	s_add_nc_u64 s[0:1], s[34:35], 1
	s_delay_alu instid0(SALU_CYCLE_1) | instskip(NEXT) | instid1(SALU_CYCLE_1)
	s_add_nc_u64 s[22:23], s[0:1], s[22:23]
	s_cmp_eq_u64 s[22:23], 0
	s_cselect_b32 s1, s1, s23
	s_cselect_b32 s0, s0, s22
	s_delay_alu instid0(SALU_CYCLE_1) | instskip(SKIP_1) | instid1(SALU_CYCLE_1)
	v_dual_mov_b32 v29, s1 :: v_dual_mov_b32 v28, s0
	s_and_b64 s[22:23], s[0:1], s[34:35]
	s_mul_u64 s[22:23], s[22:23], 24
	s_wait_loadcnt 0x0
	v_add_nc_u64_e32 v[16:17], s[22:23], v[22:23]
	global_store_b64 v[16:17], v[30:31], off
	global_wb scope:SCOPE_SYS
	s_wait_storecnt 0x0
	s_wait_xcnt 0x0
	global_atomic_cmpswap_b64 v[28:29], v1, v[28:31], s[14:15] offset:24 th:TH_ATOMIC_RETURN scope:SCOPE_SYS
	s_wait_loadcnt 0x0
	v_cmp_ne_u64_e32 vcc_lo, v[28:29], v[30:31]
	s_and_b32 exec_lo, exec_lo, vcc_lo
	s_cbranch_execz .LBB6_34
; %bb.108:                              ;   in Loop: Header=BB6_35 Depth=3
	s_mov_b32 s22, 0
.LBB6_109:                              ;   Parent Loop BB6_3 Depth=1
                                        ;     Parent Loop BB6_6 Depth=2
                                        ;       Parent Loop BB6_35 Depth=3
                                        ; =>      This Inner Loop Header: Depth=4
	v_dual_mov_b32 v26, s0 :: v_dual_mov_b32 v27, s1
	s_sleep 1
	global_store_b64 v[16:17], v[28:29], off
	global_wb scope:SCOPE_SYS
	s_wait_storecnt 0x0
	s_wait_xcnt 0x0
	global_atomic_cmpswap_b64 v[22:23], v1, v[26:29], s[14:15] offset:24 th:TH_ATOMIC_RETURN scope:SCOPE_SYS
	s_wait_loadcnt 0x0
	v_cmp_eq_u64_e32 vcc_lo, v[22:23], v[28:29]
	v_mov_b64_e32 v[28:29], v[22:23]
	s_or_b32 s22, vcc_lo, s22
	s_delay_alu instid0(SALU_CYCLE_1)
	s_and_not1_b32 exec_lo, exec_lo, s22
	s_cbranch_execnz .LBB6_109
	s_branch .LBB6_34
.LBB6_110:                              ;   in Loop: Header=BB6_6 Depth=2
.LBB6_111:                              ;   in Loop: Header=BB6_6 Depth=2
	s_and_b32 vcc_lo, exec_lo, s28
	s_cbranch_vccz .LBB6_218
.LBB6_112:                              ;   in Loop: Header=BB6_6 Depth=2
	s_wait_loadcnt 0x0
	v_dual_mov_b32 v23, v21 :: v_dual_bitop2_b32 v12, 2, v20 bitop3:0x40
	v_and_b32_e32 v22, -3, v20
	s_mov_b64 s[16:17], 53
	s_mov_b64 s[18:19], s[10:11]
	s_branch .LBB6_114
.LBB6_113:                              ;   in Loop: Header=BB6_114 Depth=3
	s_or_b32 exec_lo, exec_lo, s24
	s_sub_nc_u64 s[16:17], s[16:17], s[20:21]
	s_add_nc_u64 s[18:19], s[18:19], s[20:21]
	s_cmp_lg_u64 s[16:17], 0
	s_cbranch_scc0 .LBB6_189
.LBB6_114:                              ;   Parent Loop BB6_3 Depth=1
                                        ;     Parent Loop BB6_6 Depth=2
                                        ; =>    This Loop Header: Depth=3
                                        ;         Child Loop BB6_117 Depth 4
                                        ;         Child Loop BB6_124 Depth 4
	;; [unrolled: 1-line block ×11, first 2 shown]
	v_min_u64 v[16:17], s[16:17], 56
	v_cmp_gt_u64_e64 s0, s[16:17], 7
	s_and_b32 vcc_lo, exec_lo, s0
	v_readfirstlane_b32 s20, v16
	v_readfirstlane_b32 s21, v17
	s_cbranch_vccnz .LBB6_119
; %bb.115:                              ;   in Loop: Header=BB6_114 Depth=3
	v_mov_b64_e32 v[24:25], 0
	s_cmp_eq_u64 s[16:17], 0
	s_cbranch_scc1 .LBB6_118
; %bb.116:                              ;   in Loop: Header=BB6_114 Depth=3
	s_mov_b64 s[0:1], 0
	s_mov_b64 s[22:23], 0
.LBB6_117:                              ;   Parent Loop BB6_3 Depth=1
                                        ;     Parent Loop BB6_6 Depth=2
                                        ;       Parent Loop BB6_114 Depth=3
                                        ; =>      This Inner Loop Header: Depth=4
	s_wait_xcnt 0x0
	s_add_nc_u64 s[24:25], s[18:19], s[22:23]
	s_add_nc_u64 s[22:23], s[22:23], 1
	global_load_u8 v0, v1, s[24:25]
	s_cmp_lg_u32 s20, s22
	s_wait_loadcnt 0x0
	v_and_b32_e32 v0, 0xffff, v0
	s_delay_alu instid0(VALU_DEP_1) | instskip(SKIP_1) | instid1(VALU_DEP_1)
	v_lshlrev_b64_e32 v[16:17], s0, v[0:1]
	s_add_nc_u64 s[0:1], s[0:1], 8
	v_or_b32_e32 v24, v16, v24
	s_delay_alu instid0(VALU_DEP_2)
	v_or_b32_e32 v25, v17, v25
	s_cbranch_scc1 .LBB6_117
.LBB6_118:                              ;   in Loop: Header=BB6_114 Depth=3
	s_mov_b64 s[0:1], s[18:19]
	s_mov_b32 s31, 0
	s_cbranch_execz .LBB6_120
	s_branch .LBB6_121
.LBB6_119:                              ;   in Loop: Header=BB6_114 Depth=3
	s_add_nc_u64 s[0:1], s[18:19], 8
	s_mov_b32 s31, 0
.LBB6_120:                              ;   in Loop: Header=BB6_114 Depth=3
	global_load_b64 v[24:25], v1, s[18:19]
	s_add_co_i32 s31, s20, -8
.LBB6_121:                              ;   in Loop: Header=BB6_114 Depth=3
	s_delay_alu instid0(SALU_CYCLE_1)
	s_cmp_gt_u32 s31, 7
	s_cbranch_scc1 .LBB6_126
; %bb.122:                              ;   in Loop: Header=BB6_114 Depth=3
	v_mov_b64_e32 v[26:27], 0
	s_cmp_eq_u32 s31, 0
	s_cbranch_scc1 .LBB6_125
; %bb.123:                              ;   in Loop: Header=BB6_114 Depth=3
	s_mov_b64 s[22:23], 0
	s_wait_xcnt 0x0
	s_mov_b64 s[24:25], 0
.LBB6_124:                              ;   Parent Loop BB6_3 Depth=1
                                        ;     Parent Loop BB6_6 Depth=2
                                        ;       Parent Loop BB6_114 Depth=3
                                        ; =>      This Inner Loop Header: Depth=4
	s_wait_xcnt 0x0
	s_add_nc_u64 s[34:35], s[0:1], s[24:25]
	s_add_nc_u64 s[24:25], s[24:25], 1
	global_load_u8 v0, v1, s[34:35]
	s_cmp_lg_u32 s31, s24
	s_wait_loadcnt 0x0
	v_and_b32_e32 v0, 0xffff, v0
	s_delay_alu instid0(VALU_DEP_1) | instskip(SKIP_1) | instid1(VALU_DEP_1)
	v_lshlrev_b64_e32 v[16:17], s22, v[0:1]
	s_add_nc_u64 s[22:23], s[22:23], 8
	v_or_b32_e32 v26, v16, v26
	s_delay_alu instid0(VALU_DEP_2)
	v_or_b32_e32 v27, v17, v27
	s_cbranch_scc1 .LBB6_124
.LBB6_125:                              ;   in Loop: Header=BB6_114 Depth=3
	s_wait_xcnt 0x0
	s_mov_b64 s[22:23], s[0:1]
	s_mov_b32 s33, 0
	s_cbranch_execz .LBB6_127
	s_branch .LBB6_128
.LBB6_126:                              ;   in Loop: Header=BB6_114 Depth=3
	s_add_nc_u64 s[22:23], s[0:1], 8
	s_wait_xcnt 0x0
                                        ; implicit-def: $vgpr26_vgpr27
	s_mov_b32 s33, 0
.LBB6_127:                              ;   in Loop: Header=BB6_114 Depth=3
	global_load_b64 v[26:27], v1, s[0:1]
	s_add_co_i32 s33, s31, -8
.LBB6_128:                              ;   in Loop: Header=BB6_114 Depth=3
	s_delay_alu instid0(SALU_CYCLE_1)
	s_cmp_gt_u32 s33, 7
	s_cbranch_scc1 .LBB6_133
; %bb.129:                              ;   in Loop: Header=BB6_114 Depth=3
	v_mov_b64_e32 v[28:29], 0
	s_cmp_eq_u32 s33, 0
	s_cbranch_scc1 .LBB6_132
; %bb.130:                              ;   in Loop: Header=BB6_114 Depth=3
	s_wait_xcnt 0x0
	s_mov_b64 s[0:1], 0
	s_mov_b64 s[24:25], 0
.LBB6_131:                              ;   Parent Loop BB6_3 Depth=1
                                        ;     Parent Loop BB6_6 Depth=2
                                        ;       Parent Loop BB6_114 Depth=3
                                        ; =>      This Inner Loop Header: Depth=4
	s_wait_xcnt 0x0
	s_add_nc_u64 s[34:35], s[22:23], s[24:25]
	s_add_nc_u64 s[24:25], s[24:25], 1
	global_load_u8 v0, v1, s[34:35]
	s_cmp_lg_u32 s33, s24
	s_wait_loadcnt 0x0
	v_and_b32_e32 v0, 0xffff, v0
	s_delay_alu instid0(VALU_DEP_1) | instskip(SKIP_1) | instid1(VALU_DEP_1)
	v_lshlrev_b64_e32 v[16:17], s0, v[0:1]
	s_add_nc_u64 s[0:1], s[0:1], 8
	v_or_b32_e32 v28, v16, v28
	s_delay_alu instid0(VALU_DEP_2)
	v_or_b32_e32 v29, v17, v29
	s_cbranch_scc1 .LBB6_131
.LBB6_132:                              ;   in Loop: Header=BB6_114 Depth=3
	s_wait_xcnt 0x0
	s_mov_b64 s[0:1], s[22:23]
	s_mov_b32 s31, 0
	s_cbranch_execz .LBB6_134
	s_branch .LBB6_135
.LBB6_133:                              ;   in Loop: Header=BB6_114 Depth=3
	s_wait_xcnt 0x0
	s_add_nc_u64 s[0:1], s[22:23], 8
	s_mov_b32 s31, 0
.LBB6_134:                              ;   in Loop: Header=BB6_114 Depth=3
	global_load_b64 v[28:29], v1, s[22:23]
	s_add_co_i32 s31, s33, -8
.LBB6_135:                              ;   in Loop: Header=BB6_114 Depth=3
	s_delay_alu instid0(SALU_CYCLE_1)
	s_cmp_gt_u32 s31, 7
	s_cbranch_scc1 .LBB6_140
; %bb.136:                              ;   in Loop: Header=BB6_114 Depth=3
	v_mov_b64_e32 v[30:31], 0
	s_cmp_eq_u32 s31, 0
	s_cbranch_scc1 .LBB6_139
; %bb.137:                              ;   in Loop: Header=BB6_114 Depth=3
	s_wait_xcnt 0x0
	s_mov_b64 s[22:23], 0
	s_mov_b64 s[24:25], 0
.LBB6_138:                              ;   Parent Loop BB6_3 Depth=1
                                        ;     Parent Loop BB6_6 Depth=2
                                        ;       Parent Loop BB6_114 Depth=3
                                        ; =>      This Inner Loop Header: Depth=4
	s_wait_xcnt 0x0
	s_add_nc_u64 s[34:35], s[0:1], s[24:25]
	s_add_nc_u64 s[24:25], s[24:25], 1
	global_load_u8 v0, v1, s[34:35]
	s_cmp_lg_u32 s31, s24
	s_wait_loadcnt 0x0
	v_and_b32_e32 v0, 0xffff, v0
	s_delay_alu instid0(VALU_DEP_1) | instskip(SKIP_1) | instid1(VALU_DEP_1)
	v_lshlrev_b64_e32 v[16:17], s22, v[0:1]
	s_add_nc_u64 s[22:23], s[22:23], 8
	v_or_b32_e32 v30, v16, v30
	s_delay_alu instid0(VALU_DEP_2)
	v_or_b32_e32 v31, v17, v31
	s_cbranch_scc1 .LBB6_138
.LBB6_139:                              ;   in Loop: Header=BB6_114 Depth=3
	s_wait_xcnt 0x0
	s_mov_b64 s[22:23], s[0:1]
	s_mov_b32 s33, 0
	s_cbranch_execz .LBB6_141
	s_branch .LBB6_142
.LBB6_140:                              ;   in Loop: Header=BB6_114 Depth=3
	s_wait_xcnt 0x0
	s_add_nc_u64 s[22:23], s[0:1], 8
                                        ; implicit-def: $vgpr30_vgpr31
	s_mov_b32 s33, 0
.LBB6_141:                              ;   in Loop: Header=BB6_114 Depth=3
	global_load_b64 v[30:31], v1, s[0:1]
	s_add_co_i32 s33, s31, -8
.LBB6_142:                              ;   in Loop: Header=BB6_114 Depth=3
	s_delay_alu instid0(SALU_CYCLE_1)
	s_cmp_gt_u32 s33, 7
	s_cbranch_scc1 .LBB6_147
; %bb.143:                              ;   in Loop: Header=BB6_114 Depth=3
	v_mov_b64_e32 v[32:33], 0
	s_cmp_eq_u32 s33, 0
	s_cbranch_scc1 .LBB6_146
; %bb.144:                              ;   in Loop: Header=BB6_114 Depth=3
	s_wait_xcnt 0x0
	s_mov_b64 s[0:1], 0
	s_mov_b64 s[24:25], 0
.LBB6_145:                              ;   Parent Loop BB6_3 Depth=1
                                        ;     Parent Loop BB6_6 Depth=2
                                        ;       Parent Loop BB6_114 Depth=3
                                        ; =>      This Inner Loop Header: Depth=4
	s_wait_xcnt 0x0
	s_add_nc_u64 s[34:35], s[22:23], s[24:25]
	s_add_nc_u64 s[24:25], s[24:25], 1
	global_load_u8 v0, v1, s[34:35]
	s_cmp_lg_u32 s33, s24
	s_wait_loadcnt 0x0
	v_and_b32_e32 v0, 0xffff, v0
	s_delay_alu instid0(VALU_DEP_1) | instskip(SKIP_1) | instid1(VALU_DEP_1)
	v_lshlrev_b64_e32 v[16:17], s0, v[0:1]
	s_add_nc_u64 s[0:1], s[0:1], 8
	v_or_b32_e32 v32, v16, v32
	s_delay_alu instid0(VALU_DEP_2)
	v_or_b32_e32 v33, v17, v33
	s_cbranch_scc1 .LBB6_145
.LBB6_146:                              ;   in Loop: Header=BB6_114 Depth=3
	s_wait_xcnt 0x0
	s_mov_b64 s[0:1], s[22:23]
	s_mov_b32 s31, 0
	s_cbranch_execz .LBB6_148
	s_branch .LBB6_149
.LBB6_147:                              ;   in Loop: Header=BB6_114 Depth=3
	s_wait_xcnt 0x0
	s_add_nc_u64 s[0:1], s[22:23], 8
	s_mov_b32 s31, 0
.LBB6_148:                              ;   in Loop: Header=BB6_114 Depth=3
	global_load_b64 v[32:33], v1, s[22:23]
	s_add_co_i32 s31, s33, -8
.LBB6_149:                              ;   in Loop: Header=BB6_114 Depth=3
	s_delay_alu instid0(SALU_CYCLE_1)
	s_cmp_gt_u32 s31, 7
	s_cbranch_scc1 .LBB6_154
; %bb.150:                              ;   in Loop: Header=BB6_114 Depth=3
	v_mov_b64_e32 v[34:35], 0
	s_cmp_eq_u32 s31, 0
	s_cbranch_scc1 .LBB6_153
; %bb.151:                              ;   in Loop: Header=BB6_114 Depth=3
	s_wait_xcnt 0x0
	s_mov_b64 s[22:23], 0
	s_mov_b64 s[24:25], 0
.LBB6_152:                              ;   Parent Loop BB6_3 Depth=1
                                        ;     Parent Loop BB6_6 Depth=2
                                        ;       Parent Loop BB6_114 Depth=3
                                        ; =>      This Inner Loop Header: Depth=4
	s_wait_xcnt 0x0
	s_add_nc_u64 s[34:35], s[0:1], s[24:25]
	s_add_nc_u64 s[24:25], s[24:25], 1
	global_load_u8 v0, v1, s[34:35]
	s_cmp_lg_u32 s31, s24
	s_wait_loadcnt 0x0
	v_and_b32_e32 v0, 0xffff, v0
	s_delay_alu instid0(VALU_DEP_1) | instskip(SKIP_1) | instid1(VALU_DEP_1)
	v_lshlrev_b64_e32 v[16:17], s22, v[0:1]
	s_add_nc_u64 s[22:23], s[22:23], 8
	v_or_b32_e32 v34, v16, v34
	s_delay_alu instid0(VALU_DEP_2)
	v_or_b32_e32 v35, v17, v35
	s_cbranch_scc1 .LBB6_152
.LBB6_153:                              ;   in Loop: Header=BB6_114 Depth=3
	s_wait_xcnt 0x0
	s_mov_b64 s[22:23], s[0:1]
	s_mov_b32 s33, 0
	s_cbranch_execz .LBB6_155
	s_branch .LBB6_156
.LBB6_154:                              ;   in Loop: Header=BB6_114 Depth=3
	s_wait_xcnt 0x0
	s_add_nc_u64 s[22:23], s[0:1], 8
                                        ; implicit-def: $vgpr34_vgpr35
	s_mov_b32 s33, 0
.LBB6_155:                              ;   in Loop: Header=BB6_114 Depth=3
	global_load_b64 v[34:35], v1, s[0:1]
	s_add_co_i32 s33, s31, -8
.LBB6_156:                              ;   in Loop: Header=BB6_114 Depth=3
	s_delay_alu instid0(SALU_CYCLE_1)
	s_cmp_gt_u32 s33, 7
	s_cbranch_scc1 .LBB6_161
; %bb.157:                              ;   in Loop: Header=BB6_114 Depth=3
	v_mov_b64_e32 v[36:37], 0
	s_cmp_eq_u32 s33, 0
	s_cbranch_scc1 .LBB6_160
; %bb.158:                              ;   in Loop: Header=BB6_114 Depth=3
	s_wait_xcnt 0x0
	s_mov_b64 s[0:1], 0
	s_mov_b64 s[24:25], s[22:23]
.LBB6_159:                              ;   Parent Loop BB6_3 Depth=1
                                        ;     Parent Loop BB6_6 Depth=2
                                        ;       Parent Loop BB6_114 Depth=3
                                        ; =>      This Inner Loop Header: Depth=4
	global_load_u8 v0, v1, s[24:25]
	s_add_co_i32 s33, s33, -1
	s_wait_xcnt 0x0
	s_add_nc_u64 s[24:25], s[24:25], 1
	s_cmp_lg_u32 s33, 0
	s_wait_loadcnt 0x0
	v_and_b32_e32 v0, 0xffff, v0
	s_delay_alu instid0(VALU_DEP_1) | instskip(SKIP_1) | instid1(VALU_DEP_1)
	v_lshlrev_b64_e32 v[16:17], s0, v[0:1]
	s_add_nc_u64 s[0:1], s[0:1], 8
	v_or_b32_e32 v36, v16, v36
	s_delay_alu instid0(VALU_DEP_2)
	v_or_b32_e32 v37, v17, v37
	s_cbranch_scc1 .LBB6_159
.LBB6_160:                              ;   in Loop: Header=BB6_114 Depth=3
	s_wait_xcnt 0x0
	s_cbranch_execz .LBB6_162
	s_branch .LBB6_163
.LBB6_161:                              ;   in Loop: Header=BB6_114 Depth=3
	s_wait_xcnt 0x0
.LBB6_162:                              ;   in Loop: Header=BB6_114 Depth=3
	global_load_b64 v[36:37], v1, s[22:23]
.LBB6_163:                              ;   in Loop: Header=BB6_114 Depth=3
	v_readfirstlane_b32 s0, v42
	v_mov_b64_e32 v[16:17], 0
	s_delay_alu instid0(VALU_DEP_2)
	v_cmp_eq_u32_e64 s0, s0, v42
	s_wait_xcnt 0x0
	s_and_saveexec_b32 s1, s0
	s_cbranch_execz .LBB6_169
; %bb.164:                              ;   in Loop: Header=BB6_114 Depth=3
	global_load_b64 v[40:41], v1, s[14:15] offset:24 scope:SCOPE_SYS
	s_wait_loadcnt 0x0
	global_inv scope:SCOPE_SYS
	s_clause 0x1
	global_load_b64 v[16:17], v1, s[14:15] offset:40
	global_load_b64 v[38:39], v1, s[14:15]
	s_mov_b32 s22, exec_lo
	s_wait_loadcnt 0x1
	v_and_b32_e32 v16, v16, v40
	v_and_b32_e32 v17, v17, v41
	s_delay_alu instid0(VALU_DEP_1) | instskip(SKIP_1) | instid1(VALU_DEP_1)
	v_mul_u64_e32 v[16:17], 24, v[16:17]
	s_wait_loadcnt 0x0
	v_add_nc_u64_e32 v[16:17], v[38:39], v[16:17]
	global_load_b64 v[38:39], v[16:17], off scope:SCOPE_SYS
	s_wait_xcnt 0x0
	s_wait_loadcnt 0x0
	global_atomic_cmpswap_b64 v[16:17], v1, v[38:41], s[14:15] offset:24 th:TH_ATOMIC_RETURN scope:SCOPE_SYS
	s_wait_loadcnt 0x0
	global_inv scope:SCOPE_SYS
	s_wait_xcnt 0x0
	v_cmpx_ne_u64_e64 v[16:17], v[40:41]
	s_cbranch_execz .LBB6_168
; %bb.165:                              ;   in Loop: Header=BB6_114 Depth=3
	s_mov_b32 s23, 0
.LBB6_166:                              ;   Parent Loop BB6_3 Depth=1
                                        ;     Parent Loop BB6_6 Depth=2
                                        ;       Parent Loop BB6_114 Depth=3
                                        ; =>      This Inner Loop Header: Depth=4
	s_sleep 1
	s_clause 0x1
	global_load_b64 v[38:39], v1, s[14:15] offset:40
	global_load_b64 v[48:49], v1, s[14:15]
	v_mov_b64_e32 v[40:41], v[16:17]
	s_wait_loadcnt 0x1
	s_delay_alu instid0(VALU_DEP_1) | instskip(SKIP_1) | instid1(VALU_DEP_1)
	v_and_b32_e32 v0, v38, v40
	s_wait_loadcnt 0x0
	v_mad_nc_u64_u32 v[16:17], v0, 24, v[48:49]
	s_delay_alu instid0(VALU_DEP_3) | instskip(NEXT) | instid1(VALU_DEP_1)
	v_and_b32_e32 v0, v39, v41
	v_mad_u32 v17, v0, 24, v17
	global_load_b64 v[38:39], v[16:17], off scope:SCOPE_SYS
	s_wait_xcnt 0x0
	s_wait_loadcnt 0x0
	global_atomic_cmpswap_b64 v[16:17], v1, v[38:41], s[14:15] offset:24 th:TH_ATOMIC_RETURN scope:SCOPE_SYS
	s_wait_loadcnt 0x0
	global_inv scope:SCOPE_SYS
	v_cmp_eq_u64_e32 vcc_lo, v[16:17], v[40:41]
	s_or_b32 s23, vcc_lo, s23
	s_wait_xcnt 0x0
	s_and_not1_b32 exec_lo, exec_lo, s23
	s_cbranch_execnz .LBB6_166
; %bb.167:                              ;   in Loop: Header=BB6_114 Depth=3
	s_or_b32 exec_lo, exec_lo, s23
.LBB6_168:                              ;   in Loop: Header=BB6_114 Depth=3
	s_delay_alu instid0(SALU_CYCLE_1)
	s_or_b32 exec_lo, exec_lo, s22
.LBB6_169:                              ;   in Loop: Header=BB6_114 Depth=3
	s_delay_alu instid0(SALU_CYCLE_1)
	s_or_b32 exec_lo, exec_lo, s1
	s_clause 0x1
	global_load_b64 v[48:49], v1, s[14:15] offset:40
	global_load_b128 v[38:41], v1, s[14:15]
	v_readfirstlane_b32 s22, v16
	v_readfirstlane_b32 s23, v17
	s_mov_b32 s1, exec_lo
	s_wait_loadcnt 0x1
	v_and_b32_e32 v48, s22, v48
	v_and_b32_e32 v49, s23, v49
	s_delay_alu instid0(VALU_DEP_1) | instskip(SKIP_1) | instid1(VALU_DEP_1)
	v_mul_u64_e32 v[16:17], 24, v[48:49]
	s_wait_loadcnt 0x0
	v_add_nc_u64_e32 v[16:17], v[38:39], v[16:17]
	s_wait_xcnt 0x0
	s_and_saveexec_b32 s24, s0
	s_cbranch_execz .LBB6_171
; %bb.170:                              ;   in Loop: Header=BB6_114 Depth=3
	v_mov_b32_e32 v0, s1
	global_store_b128 v[16:17], v[0:3], off offset:8
.LBB6_171:                              ;   in Loop: Header=BB6_114 Depth=3
	s_wait_xcnt 0x0
	s_or_b32 exec_lo, exec_lo, s24
	v_cmp_lt_u64_e64 vcc_lo, s[16:17], 57
	v_lshlrev_b64_e32 v[48:49], 12, v[48:49]
	v_and_b32_e32 v13, 0xffffff1f, v22
	s_lshl_b32 s1, s20, 2
	s_delay_alu instid0(SALU_CYCLE_1) | instskip(SKIP_1) | instid1(VALU_DEP_3)
	s_add_co_i32 s1, s1, 28
	v_cndmask_b32_e32 v0, 0, v12, vcc_lo
	v_add_nc_u64_e32 v[40:41], v[40:41], v[48:49]
	s_delay_alu instid0(VALU_DEP_2) | instskip(NEXT) | instid1(VALU_DEP_2)
	v_or_b32_e32 v0, v13, v0
	v_readfirstlane_b32 s24, v40
	s_delay_alu instid0(VALU_DEP_3) | instskip(NEXT) | instid1(VALU_DEP_3)
	v_readfirstlane_b32 s25, v41
	v_and_or_b32 v22, 0x1e0, s1, v0
	s_clause 0x3
	global_store_b128 v44, v[22:25], s[24:25]
	global_store_b128 v44, v[26:29], s[24:25] offset:16
	global_store_b128 v44, v[30:33], s[24:25] offset:32
	;; [unrolled: 1-line block ×3, first 2 shown]
	s_wait_xcnt 0x0
	s_and_saveexec_b32 s1, s0
	s_cbranch_execz .LBB6_179
; %bb.172:                              ;   in Loop: Header=BB6_114 Depth=3
	s_clause 0x1
	global_load_b64 v[30:31], v1, s[14:15] offset:32 scope:SCOPE_SYS
	global_load_b64 v[22:23], v1, s[14:15] offset:40
	s_mov_b32 s24, exec_lo
	v_dual_mov_b32 v28, s22 :: v_dual_mov_b32 v29, s23
	s_wait_loadcnt 0x0
	v_and_b32_e32 v23, s23, v23
	v_and_b32_e32 v22, s22, v22
	s_delay_alu instid0(VALU_DEP_1) | instskip(NEXT) | instid1(VALU_DEP_1)
	v_mul_u64_e32 v[22:23], 24, v[22:23]
	v_add_nc_u64_e32 v[26:27], v[38:39], v[22:23]
	global_store_b64 v[26:27], v[30:31], off
	global_wb scope:SCOPE_SYS
	s_wait_storecnt 0x0
	s_wait_xcnt 0x0
	global_atomic_cmpswap_b64 v[24:25], v1, v[28:31], s[14:15] offset:32 th:TH_ATOMIC_RETURN scope:SCOPE_SYS
	s_wait_loadcnt 0x0
	v_cmpx_ne_u64_e64 v[24:25], v[30:31]
	s_cbranch_execz .LBB6_175
; %bb.173:                              ;   in Loop: Header=BB6_114 Depth=3
	s_mov_b32 s25, 0
.LBB6_174:                              ;   Parent Loop BB6_3 Depth=1
                                        ;     Parent Loop BB6_6 Depth=2
                                        ;       Parent Loop BB6_114 Depth=3
                                        ; =>      This Inner Loop Header: Depth=4
	v_dual_mov_b32 v22, s22 :: v_dual_mov_b32 v23, s23
	s_sleep 1
	global_store_b64 v[26:27], v[24:25], off
	global_wb scope:SCOPE_SYS
	s_wait_storecnt 0x0
	s_wait_xcnt 0x0
	global_atomic_cmpswap_b64 v[22:23], v1, v[22:25], s[14:15] offset:32 th:TH_ATOMIC_RETURN scope:SCOPE_SYS
	s_wait_loadcnt 0x0
	v_cmp_eq_u64_e32 vcc_lo, v[22:23], v[24:25]
	v_mov_b64_e32 v[24:25], v[22:23]
	s_or_b32 s25, vcc_lo, s25
	s_delay_alu instid0(SALU_CYCLE_1)
	s_and_not1_b32 exec_lo, exec_lo, s25
	s_cbranch_execnz .LBB6_174
.LBB6_175:                              ;   in Loop: Header=BB6_114 Depth=3
	s_or_b32 exec_lo, exec_lo, s24
	global_load_b64 v[22:23], v1, s[14:15] offset:16
	s_mov_b32 s25, exec_lo
	s_mov_b32 s24, exec_lo
	v_mbcnt_lo_u32_b32 v0, s25, 0
	s_wait_xcnt 0x0
	s_delay_alu instid0(VALU_DEP_1)
	v_cmpx_eq_u32_e32 0, v0
	s_cbranch_execz .LBB6_177
; %bb.176:                              ;   in Loop: Header=BB6_114 Depth=3
	s_bcnt1_i32_b32 s25, s25
	s_delay_alu instid0(SALU_CYCLE_1)
	v_mov_b32_e32 v0, s25
	global_wb scope:SCOPE_SYS
	s_wait_loadcnt 0x0
	s_wait_storecnt 0x0
	global_atomic_add_u64 v[22:23], v[0:1], off offset:8 scope:SCOPE_SYS
.LBB6_177:                              ;   in Loop: Header=BB6_114 Depth=3
	s_wait_xcnt 0x0
	s_or_b32 exec_lo, exec_lo, s24
	s_wait_loadcnt 0x0
	global_load_b64 v[24:25], v[22:23], off offset:16
	s_wait_loadcnt 0x0
	v_cmp_eq_u64_e32 vcc_lo, 0, v[24:25]
	s_cbranch_vccnz .LBB6_179
; %bb.178:                              ;   in Loop: Header=BB6_114 Depth=3
	global_load_b32 v0, v[22:23], off offset:24
	s_wait_loadcnt 0x0
	v_readfirstlane_b32 s24, v0
	global_wb scope:SCOPE_SYS
	s_wait_storecnt 0x0
	s_wait_xcnt 0x0
	global_store_b64 v[24:25], v[0:1], off scope:SCOPE_SYS
	s_and_b32 m0, s24, 0xffffff
	s_sendmsg sendmsg(MSG_INTERRUPT)
.LBB6_179:                              ;   in Loop: Header=BB6_114 Depth=3
	s_wait_xcnt 0x0
	s_or_b32 exec_lo, exec_lo, s1
	v_mov_b32_e32 v45, v1
	s_delay_alu instid0(VALU_DEP_1)
	v_add_nc_u64_e32 v[22:23], v[40:41], v[44:45]
	s_branch .LBB6_183
.LBB6_180:                              ;   in Loop: Header=BB6_183 Depth=4
	s_wait_xcnt 0x0
	s_or_b32 exec_lo, exec_lo, s1
	s_delay_alu instid0(VALU_DEP_1)
	v_readfirstlane_b32 s1, v0
	s_cmp_eq_u32 s1, 0
	s_cbranch_scc1 .LBB6_182
; %bb.181:                              ;   in Loop: Header=BB6_183 Depth=4
	s_sleep 1
	s_cbranch_execnz .LBB6_183
	s_branch .LBB6_185
.LBB6_182:                              ;   in Loop: Header=BB6_114 Depth=3
	s_branch .LBB6_185
.LBB6_183:                              ;   Parent Loop BB6_3 Depth=1
                                        ;     Parent Loop BB6_6 Depth=2
                                        ;       Parent Loop BB6_114 Depth=3
                                        ; =>      This Inner Loop Header: Depth=4
	v_mov_b32_e32 v0, 1
	s_and_saveexec_b32 s1, s0
	s_cbranch_execz .LBB6_180
; %bb.184:                              ;   in Loop: Header=BB6_183 Depth=4
	global_load_b32 v0, v[16:17], off offset:20 scope:SCOPE_SYS
	s_wait_loadcnt 0x0
	global_inv scope:SCOPE_SYS
	v_and_b32_e32 v0, 1, v0
	s_branch .LBB6_180
.LBB6_185:                              ;   in Loop: Header=BB6_114 Depth=3
	global_load_b64 v[22:23], v[22:23], off
	s_wait_xcnt 0x0
	s_and_saveexec_b32 s24, s0
	s_cbranch_execz .LBB6_113
; %bb.186:                              ;   in Loop: Header=BB6_114 Depth=3
	s_clause 0x2
	global_load_b64 v[16:17], v1, s[14:15] offset:40
	global_load_b64 v[28:29], v1, s[14:15] offset:24 scope:SCOPE_SYS
	global_load_b64 v[24:25], v1, s[14:15]
	s_wait_loadcnt 0x2
	v_readfirstlane_b32 s34, v16
	v_readfirstlane_b32 s35, v17
	s_add_nc_u64 s[0:1], s[34:35], 1
	s_delay_alu instid0(SALU_CYCLE_1) | instskip(NEXT) | instid1(SALU_CYCLE_1)
	s_add_nc_u64 s[22:23], s[0:1], s[22:23]
	s_cmp_eq_u64 s[22:23], 0
	s_cselect_b32 s1, s1, s23
	s_cselect_b32 s0, s0, s22
	s_delay_alu instid0(SALU_CYCLE_1) | instskip(SKIP_1) | instid1(SALU_CYCLE_1)
	v_dual_mov_b32 v27, s1 :: v_dual_mov_b32 v26, s0
	s_and_b64 s[22:23], s[0:1], s[34:35]
	s_mul_u64 s[22:23], s[22:23], 24
	s_wait_loadcnt 0x0
	v_add_nc_u64_e32 v[16:17], s[22:23], v[24:25]
	global_store_b64 v[16:17], v[28:29], off
	global_wb scope:SCOPE_SYS
	s_wait_storecnt 0x0
	s_wait_xcnt 0x0
	global_atomic_cmpswap_b64 v[26:27], v1, v[26:29], s[14:15] offset:24 th:TH_ATOMIC_RETURN scope:SCOPE_SYS
	s_wait_loadcnt 0x0
	v_cmp_ne_u64_e32 vcc_lo, v[26:27], v[28:29]
	s_and_b32 exec_lo, exec_lo, vcc_lo
	s_cbranch_execz .LBB6_113
; %bb.187:                              ;   in Loop: Header=BB6_114 Depth=3
	s_mov_b32 s22, 0
.LBB6_188:                              ;   Parent Loop BB6_3 Depth=1
                                        ;     Parent Loop BB6_6 Depth=2
                                        ;       Parent Loop BB6_114 Depth=3
                                        ; =>      This Inner Loop Header: Depth=4
	v_dual_mov_b32 v24, s0 :: v_dual_mov_b32 v25, s1
	s_sleep 1
	global_store_b64 v[16:17], v[26:27], off
	global_wb scope:SCOPE_SYS
	s_wait_storecnt 0x0
	s_wait_xcnt 0x0
	global_atomic_cmpswap_b64 v[24:25], v1, v[24:27], s[14:15] offset:24 th:TH_ATOMIC_RETURN scope:SCOPE_SYS
	s_wait_loadcnt 0x0
	v_cmp_eq_u64_e32 vcc_lo, v[24:25], v[26:27]
	v_mov_b64_e32 v[26:27], v[24:25]
	s_or_b32 s22, vcc_lo, s22
	s_delay_alu instid0(SALU_CYCLE_1)
	s_and_not1_b32 exec_lo, exec_lo, s22
	s_cbranch_execnz .LBB6_188
	s_branch .LBB6_113
.LBB6_189:                              ;   in Loop: Header=BB6_6 Depth=2
	s_branch .LBB6_246
.LBB6_190:                              ;   in Loop: Header=BB6_6 Depth=2
                                        ; implicit-def: $vgpr20_vgpr21
	s_cbranch_execz .LBB6_111
; %bb.191:                              ;   in Loop: Header=BB6_6 Depth=2
	v_readfirstlane_b32 s0, v42
	v_mov_b64_e32 v[12:13], 0
	s_delay_alu instid0(VALU_DEP_2)
	v_cmp_eq_u32_e64 s0, s0, v42
	s_and_saveexec_b32 s1, s0
	s_cbranch_execz .LBB6_197
; %bb.192:                              ;   in Loop: Header=BB6_6 Depth=2
	global_load_b64 v[22:23], v1, s[14:15] offset:24 scope:SCOPE_SYS
	s_wait_loadcnt 0x0
	global_inv scope:SCOPE_SYS
	s_clause 0x1
	global_load_b64 v[12:13], v1, s[14:15] offset:40
	global_load_b64 v[16:17], v1, s[14:15]
	s_mov_b32 s16, exec_lo
	s_wait_loadcnt 0x1
	v_and_b32_e32 v12, v12, v22
	v_and_b32_e32 v13, v13, v23
	s_delay_alu instid0(VALU_DEP_1) | instskip(SKIP_1) | instid1(VALU_DEP_1)
	v_mul_u64_e32 v[12:13], 24, v[12:13]
	s_wait_loadcnt 0x0
	v_add_nc_u64_e32 v[12:13], v[16:17], v[12:13]
	global_load_b64 v[20:21], v[12:13], off scope:SCOPE_SYS
	s_wait_xcnt 0x0
	s_wait_loadcnt 0x0
	global_atomic_cmpswap_b64 v[12:13], v1, v[20:23], s[14:15] offset:24 th:TH_ATOMIC_RETURN scope:SCOPE_SYS
	s_wait_loadcnt 0x0
	global_inv scope:SCOPE_SYS
	s_wait_xcnt 0x0
	v_cmpx_ne_u64_e64 v[12:13], v[22:23]
	s_cbranch_execz .LBB6_196
; %bb.193:                              ;   in Loop: Header=BB6_6 Depth=2
	s_mov_b32 s17, 0
.LBB6_194:                              ;   Parent Loop BB6_3 Depth=1
                                        ;     Parent Loop BB6_6 Depth=2
                                        ; =>    This Inner Loop Header: Depth=3
	s_sleep 1
	s_clause 0x1
	global_load_b64 v[16:17], v1, s[14:15] offset:40
	global_load_b64 v[20:21], v1, s[14:15]
	v_mov_b64_e32 v[22:23], v[12:13]
	s_wait_loadcnt 0x1
	s_delay_alu instid0(VALU_DEP_1) | instskip(SKIP_1) | instid1(VALU_DEP_1)
	v_and_b32_e32 v0, v16, v22
	s_wait_loadcnt 0x0
	v_mad_nc_u64_u32 v[12:13], v0, 24, v[20:21]
	s_delay_alu instid0(VALU_DEP_3) | instskip(NEXT) | instid1(VALU_DEP_1)
	v_and_b32_e32 v0, v17, v23
	v_mad_u32 v13, v0, 24, v13
	global_load_b64 v[20:21], v[12:13], off scope:SCOPE_SYS
	s_wait_xcnt 0x0
	s_wait_loadcnt 0x0
	global_atomic_cmpswap_b64 v[12:13], v1, v[20:23], s[14:15] offset:24 th:TH_ATOMIC_RETURN scope:SCOPE_SYS
	s_wait_loadcnt 0x0
	global_inv scope:SCOPE_SYS
	v_cmp_eq_u64_e32 vcc_lo, v[12:13], v[22:23]
	s_or_b32 s17, vcc_lo, s17
	s_wait_xcnt 0x0
	s_and_not1_b32 exec_lo, exec_lo, s17
	s_cbranch_execnz .LBB6_194
; %bb.195:                              ;   in Loop: Header=BB6_6 Depth=2
	s_or_b32 exec_lo, exec_lo, s17
.LBB6_196:                              ;   in Loop: Header=BB6_6 Depth=2
	s_delay_alu instid0(SALU_CYCLE_1)
	s_or_b32 exec_lo, exec_lo, s16
.LBB6_197:                              ;   in Loop: Header=BB6_6 Depth=2
	s_delay_alu instid0(SALU_CYCLE_1)
	s_or_b32 exec_lo, exec_lo, s1
	global_load_b64 v[16:17], v1, s[14:15] offset:40
	s_wait_loadcnt 0x1
	global_load_b128 v[20:23], v1, s[14:15]
	v_readfirstlane_b32 s16, v12
	v_readfirstlane_b32 s17, v13
	s_mov_b32 s1, exec_lo
	s_wait_loadcnt 0x1
	v_and_b32_e32 v16, s16, v16
	v_and_b32_e32 v17, s17, v17
	s_delay_alu instid0(VALU_DEP_1) | instskip(SKIP_1) | instid1(VALU_DEP_1)
	v_mul_u64_e32 v[12:13], 24, v[16:17]
	s_wait_loadcnt 0x0
	v_add_nc_u64_e32 v[12:13], v[20:21], v[12:13]
	s_wait_xcnt 0x0
	s_and_saveexec_b32 s18, s0
	s_cbranch_execz .LBB6_199
; %bb.198:                              ;   in Loop: Header=BB6_6 Depth=2
	v_mov_b32_e32 v0, s1
	global_store_b128 v[12:13], v[0:3], off offset:8
.LBB6_199:                              ;   in Loop: Header=BB6_6 Depth=2
	s_wait_xcnt 0x0
	s_or_b32 exec_lo, exec_lo, s18
	v_lshlrev_b64_e32 v[16:17], 12, v[16:17]
	v_mov_b64_e32 v[30:31], s[6:7]
	v_mov_b64_e32 v[28:29], s[4:5]
	v_and_or_b32 v24, 0xffffff1f, v24, 32
	v_dual_mov_b32 v26, v1 :: v_dual_mov_b32 v27, v1
	v_add_nc_u64_e32 v[16:17], v[22:23], v[16:17]
	s_delay_alu instid0(VALU_DEP_1) | instskip(NEXT) | instid1(VALU_DEP_2)
	v_readfirstlane_b32 s18, v16
	v_readfirstlane_b32 s19, v17
	s_clause 0x3
	global_store_b128 v44, v[24:27], s[18:19]
	global_store_b128 v44, v[28:31], s[18:19] offset:16
	global_store_b128 v44, v[28:31], s[18:19] offset:32
	;; [unrolled: 1-line block ×3, first 2 shown]
	s_wait_xcnt 0x0
	s_and_saveexec_b32 s1, s0
	s_cbranch_execz .LBB6_207
; %bb.200:                              ;   in Loop: Header=BB6_6 Depth=2
	s_clause 0x1
	global_load_b64 v[28:29], v1, s[14:15] offset:32 scope:SCOPE_SYS
	global_load_b64 v[22:23], v1, s[14:15] offset:40
	s_mov_b32 s18, exec_lo
	v_dual_mov_b32 v26, s16 :: v_dual_mov_b32 v27, s17
	s_wait_loadcnt 0x0
	v_and_b32_e32 v23, s17, v23
	v_and_b32_e32 v22, s16, v22
	s_delay_alu instid0(VALU_DEP_1) | instskip(NEXT) | instid1(VALU_DEP_1)
	v_mul_u64_e32 v[22:23], 24, v[22:23]
	v_add_nc_u64_e32 v[24:25], v[20:21], v[22:23]
	global_store_b64 v[24:25], v[28:29], off
	global_wb scope:SCOPE_SYS
	s_wait_storecnt 0x0
	s_wait_xcnt 0x0
	global_atomic_cmpswap_b64 v[22:23], v1, v[26:29], s[14:15] offset:32 th:TH_ATOMIC_RETURN scope:SCOPE_SYS
	s_wait_loadcnt 0x0
	v_cmpx_ne_u64_e64 v[22:23], v[28:29]
	s_cbranch_execz .LBB6_203
; %bb.201:                              ;   in Loop: Header=BB6_6 Depth=2
	s_mov_b32 s19, 0
.LBB6_202:                              ;   Parent Loop BB6_3 Depth=1
                                        ;     Parent Loop BB6_6 Depth=2
                                        ; =>    This Inner Loop Header: Depth=3
	v_dual_mov_b32 v20, s16 :: v_dual_mov_b32 v21, s17
	s_sleep 1
	global_store_b64 v[24:25], v[22:23], off
	global_wb scope:SCOPE_SYS
	s_wait_storecnt 0x0
	s_wait_xcnt 0x0
	global_atomic_cmpswap_b64 v[20:21], v1, v[20:23], s[14:15] offset:32 th:TH_ATOMIC_RETURN scope:SCOPE_SYS
	s_wait_loadcnt 0x0
	v_cmp_eq_u64_e32 vcc_lo, v[20:21], v[22:23]
	v_mov_b64_e32 v[22:23], v[20:21]
	s_or_b32 s19, vcc_lo, s19
	s_delay_alu instid0(SALU_CYCLE_1)
	s_and_not1_b32 exec_lo, exec_lo, s19
	s_cbranch_execnz .LBB6_202
.LBB6_203:                              ;   in Loop: Header=BB6_6 Depth=2
	s_or_b32 exec_lo, exec_lo, s18
	global_load_b64 v[20:21], v1, s[14:15] offset:16
	s_mov_b32 s19, exec_lo
	s_mov_b32 s18, exec_lo
	v_mbcnt_lo_u32_b32 v0, s19, 0
	s_wait_xcnt 0x0
	s_delay_alu instid0(VALU_DEP_1)
	v_cmpx_eq_u32_e32 0, v0
	s_cbranch_execz .LBB6_205
; %bb.204:                              ;   in Loop: Header=BB6_6 Depth=2
	s_bcnt1_i32_b32 s19, s19
	s_delay_alu instid0(SALU_CYCLE_1)
	v_mov_b32_e32 v0, s19
	global_wb scope:SCOPE_SYS
	s_wait_loadcnt 0x0
	s_wait_storecnt 0x0
	global_atomic_add_u64 v[20:21], v[0:1], off offset:8 scope:SCOPE_SYS
.LBB6_205:                              ;   in Loop: Header=BB6_6 Depth=2
	s_wait_xcnt 0x0
	s_or_b32 exec_lo, exec_lo, s18
	s_wait_loadcnt 0x0
	global_load_b64 v[22:23], v[20:21], off offset:16
	s_wait_loadcnt 0x0
	v_cmp_eq_u64_e32 vcc_lo, 0, v[22:23]
	s_cbranch_vccnz .LBB6_207
; %bb.206:                              ;   in Loop: Header=BB6_6 Depth=2
	global_load_b32 v0, v[20:21], off offset:24
	s_wait_loadcnt 0x0
	v_readfirstlane_b32 s18, v0
	global_wb scope:SCOPE_SYS
	s_wait_storecnt 0x0
	s_wait_xcnt 0x0
	global_store_b64 v[22:23], v[0:1], off scope:SCOPE_SYS
	s_and_b32 m0, s18, 0xffffff
	s_sendmsg sendmsg(MSG_INTERRUPT)
.LBB6_207:                              ;   in Loop: Header=BB6_6 Depth=2
	s_wait_xcnt 0x0
	s_or_b32 exec_lo, exec_lo, s1
	v_mov_b32_e32 v45, v1
	s_delay_alu instid0(VALU_DEP_1)
	v_add_nc_u64_e32 v[16:17], v[16:17], v[44:45]
	s_branch .LBB6_211
.LBB6_208:                              ;   in Loop: Header=BB6_211 Depth=3
	s_wait_xcnt 0x0
	s_or_b32 exec_lo, exec_lo, s1
	s_delay_alu instid0(VALU_DEP_1)
	v_readfirstlane_b32 s1, v0
	s_cmp_eq_u32 s1, 0
	s_cbranch_scc1 .LBB6_210
; %bb.209:                              ;   in Loop: Header=BB6_211 Depth=3
	s_sleep 1
	s_cbranch_execnz .LBB6_211
	s_branch .LBB6_213
.LBB6_210:                              ;   in Loop: Header=BB6_6 Depth=2
	s_branch .LBB6_213
.LBB6_211:                              ;   Parent Loop BB6_3 Depth=1
                                        ;     Parent Loop BB6_6 Depth=2
                                        ; =>    This Inner Loop Header: Depth=3
	v_mov_b32_e32 v0, 1
	s_and_saveexec_b32 s1, s0
	s_cbranch_execz .LBB6_208
; %bb.212:                              ;   in Loop: Header=BB6_211 Depth=3
	global_load_b32 v0, v[12:13], off offset:20 scope:SCOPE_SYS
	s_wait_loadcnt 0x0
	global_inv scope:SCOPE_SYS
	v_and_b32_e32 v0, 1, v0
	s_branch .LBB6_208
.LBB6_213:                              ;   in Loop: Header=BB6_6 Depth=2
	global_load_b64 v[20:21], v[16:17], off
	s_wait_xcnt 0x0
	s_and_saveexec_b32 s18, s0
	s_cbranch_execz .LBB6_217
; %bb.214:                              ;   in Loop: Header=BB6_6 Depth=2
	s_clause 0x2
	global_load_b64 v[12:13], v1, s[14:15] offset:40
	global_load_b64 v[26:27], v1, s[14:15] offset:24 scope:SCOPE_SYS
	global_load_b64 v[16:17], v1, s[14:15]
	s_wait_loadcnt 0x2
	v_readfirstlane_b32 s20, v12
	v_readfirstlane_b32 s21, v13
	s_add_nc_u64 s[0:1], s[20:21], 1
	s_delay_alu instid0(SALU_CYCLE_1) | instskip(NEXT) | instid1(SALU_CYCLE_1)
	s_add_nc_u64 s[16:17], s[0:1], s[16:17]
	s_cmp_eq_u64 s[16:17], 0
	s_cselect_b32 s1, s1, s17
	s_cselect_b32 s0, s0, s16
	s_delay_alu instid0(SALU_CYCLE_1) | instskip(SKIP_1) | instid1(SALU_CYCLE_1)
	v_dual_mov_b32 v25, s1 :: v_dual_mov_b32 v24, s0
	s_and_b64 s[16:17], s[0:1], s[20:21]
	s_mul_u64 s[16:17], s[16:17], 24
	s_wait_loadcnt 0x0
	v_add_nc_u64_e32 v[12:13], s[16:17], v[16:17]
	global_store_b64 v[12:13], v[26:27], off
	global_wb scope:SCOPE_SYS
	s_wait_storecnt 0x0
	s_wait_xcnt 0x0
	global_atomic_cmpswap_b64 v[24:25], v1, v[24:27], s[14:15] offset:24 th:TH_ATOMIC_RETURN scope:SCOPE_SYS
	s_wait_loadcnt 0x0
	v_cmp_ne_u64_e32 vcc_lo, v[24:25], v[26:27]
	s_and_b32 exec_lo, exec_lo, vcc_lo
	s_cbranch_execz .LBB6_217
; %bb.215:                              ;   in Loop: Header=BB6_6 Depth=2
	s_mov_b32 s16, 0
.LBB6_216:                              ;   Parent Loop BB6_3 Depth=1
                                        ;     Parent Loop BB6_6 Depth=2
                                        ; =>    This Inner Loop Header: Depth=3
	v_dual_mov_b32 v22, s0 :: v_dual_mov_b32 v23, s1
	s_sleep 1
	global_store_b64 v[12:13], v[24:25], off
	global_wb scope:SCOPE_SYS
	s_wait_storecnt 0x0
	s_wait_xcnt 0x0
	global_atomic_cmpswap_b64 v[16:17], v1, v[22:25], s[14:15] offset:24 th:TH_ATOMIC_RETURN scope:SCOPE_SYS
	s_wait_loadcnt 0x0
	v_cmp_eq_u64_e32 vcc_lo, v[16:17], v[24:25]
	v_mov_b64_e32 v[24:25], v[16:17]
	s_or_b32 s16, vcc_lo, s16
	s_delay_alu instid0(SALU_CYCLE_1)
	s_and_not1_b32 exec_lo, exec_lo, s16
	s_cbranch_execnz .LBB6_216
.LBB6_217:                              ;   in Loop: Header=BB6_6 Depth=2
	s_or_b32 exec_lo, exec_lo, s18
	s_delay_alu instid0(SALU_CYCLE_1)
	s_and_b32 vcc_lo, exec_lo, s28
	s_cbranch_vccnz .LBB6_112
.LBB6_218:                              ;   in Loop: Header=BB6_6 Depth=2
                                        ; implicit-def: $vgpr22_vgpr23
	s_cbranch_execz .LBB6_246
; %bb.219:                              ;   in Loop: Header=BB6_6 Depth=2
	v_readfirstlane_b32 s0, v42
	v_mov_b64_e32 v[12:13], 0
	s_delay_alu instid0(VALU_DEP_2)
	v_cmp_eq_u32_e64 s0, s0, v42
	s_and_saveexec_b32 s1, s0
	s_cbranch_execz .LBB6_225
; %bb.220:                              ;   in Loop: Header=BB6_6 Depth=2
	s_wait_loadcnt 0x0
	global_load_b64 v[24:25], v1, s[14:15] offset:24 scope:SCOPE_SYS
	s_wait_loadcnt 0x0
	global_inv scope:SCOPE_SYS
	s_clause 0x1
	global_load_b64 v[12:13], v1, s[14:15] offset:40
	global_load_b64 v[16:17], v1, s[14:15]
	s_mov_b32 s16, exec_lo
	s_wait_loadcnt 0x1
	v_and_b32_e32 v12, v12, v24
	v_and_b32_e32 v13, v13, v25
	s_delay_alu instid0(VALU_DEP_1) | instskip(SKIP_1) | instid1(VALU_DEP_1)
	v_mul_u64_e32 v[12:13], 24, v[12:13]
	s_wait_loadcnt 0x0
	v_add_nc_u64_e32 v[12:13], v[16:17], v[12:13]
	global_load_b64 v[22:23], v[12:13], off scope:SCOPE_SYS
	s_wait_xcnt 0x0
	s_wait_loadcnt 0x0
	global_atomic_cmpswap_b64 v[12:13], v1, v[22:25], s[14:15] offset:24 th:TH_ATOMIC_RETURN scope:SCOPE_SYS
	s_wait_loadcnt 0x0
	global_inv scope:SCOPE_SYS
	s_wait_xcnt 0x0
	v_cmpx_ne_u64_e64 v[12:13], v[24:25]
	s_cbranch_execz .LBB6_224
; %bb.221:                              ;   in Loop: Header=BB6_6 Depth=2
	s_mov_b32 s17, 0
.LBB6_222:                              ;   Parent Loop BB6_3 Depth=1
                                        ;     Parent Loop BB6_6 Depth=2
                                        ; =>    This Inner Loop Header: Depth=3
	s_sleep 1
	s_clause 0x1
	global_load_b64 v[16:17], v1, s[14:15] offset:40
	global_load_b64 v[22:23], v1, s[14:15]
	v_mov_b64_e32 v[24:25], v[12:13]
	s_wait_loadcnt 0x1
	s_delay_alu instid0(VALU_DEP_1) | instskip(SKIP_1) | instid1(VALU_DEP_1)
	v_and_b32_e32 v0, v16, v24
	s_wait_loadcnt 0x0
	v_mad_nc_u64_u32 v[12:13], v0, 24, v[22:23]
	s_delay_alu instid0(VALU_DEP_3) | instskip(NEXT) | instid1(VALU_DEP_1)
	v_and_b32_e32 v0, v17, v25
	v_mad_u32 v13, v0, 24, v13
	global_load_b64 v[22:23], v[12:13], off scope:SCOPE_SYS
	s_wait_xcnt 0x0
	s_wait_loadcnt 0x0
	global_atomic_cmpswap_b64 v[12:13], v1, v[22:25], s[14:15] offset:24 th:TH_ATOMIC_RETURN scope:SCOPE_SYS
	s_wait_loadcnt 0x0
	global_inv scope:SCOPE_SYS
	v_cmp_eq_u64_e32 vcc_lo, v[12:13], v[24:25]
	s_or_b32 s17, vcc_lo, s17
	s_wait_xcnt 0x0
	s_and_not1_b32 exec_lo, exec_lo, s17
	s_cbranch_execnz .LBB6_222
; %bb.223:                              ;   in Loop: Header=BB6_6 Depth=2
	s_or_b32 exec_lo, exec_lo, s17
.LBB6_224:                              ;   in Loop: Header=BB6_6 Depth=2
	s_delay_alu instid0(SALU_CYCLE_1)
	s_or_b32 exec_lo, exec_lo, s16
.LBB6_225:                              ;   in Loop: Header=BB6_6 Depth=2
	s_delay_alu instid0(SALU_CYCLE_1)
	s_or_b32 exec_lo, exec_lo, s1
	global_load_b64 v[16:17], v1, s[14:15] offset:40
	s_wait_loadcnt 0x1
	global_load_b128 v[24:27], v1, s[14:15]
	v_readfirstlane_b32 s16, v12
	v_readfirstlane_b32 s17, v13
	s_mov_b32 s1, exec_lo
	s_wait_loadcnt 0x1
	v_and_b32_e32 v16, s16, v16
	v_and_b32_e32 v17, s17, v17
	s_delay_alu instid0(VALU_DEP_1) | instskip(SKIP_1) | instid1(VALU_DEP_1)
	v_mul_u64_e32 v[12:13], 24, v[16:17]
	s_wait_loadcnt 0x0
	v_add_nc_u64_e32 v[12:13], v[24:25], v[12:13]
	s_wait_xcnt 0x0
	s_and_saveexec_b32 s18, s0
	s_cbranch_execz .LBB6_227
; %bb.226:                              ;   in Loop: Header=BB6_6 Depth=2
	v_mov_b32_e32 v0, s1
	global_store_b128 v[12:13], v[0:3], off offset:8
.LBB6_227:                              ;   in Loop: Header=BB6_6 Depth=2
	s_wait_xcnt 0x0
	s_or_b32 exec_lo, exec_lo, s18
	v_lshlrev_b64_e32 v[16:17], 12, v[16:17]
	v_and_or_b32 v20, 0xffffff1f, v20, 32
	v_dual_mov_b32 v22, v1 :: v_dual_mov_b32 v23, v1
	s_delay_alu instid0(VALU_DEP_3) | instskip(SKIP_2) | instid1(VALU_DEP_3)
	v_add_nc_u64_e32 v[16:17], v[26:27], v[16:17]
	v_mov_b64_e32 v[28:29], s[6:7]
	v_mov_b64_e32 v[26:27], s[4:5]
	v_readfirstlane_b32 s18, v16
	s_delay_alu instid0(VALU_DEP_4)
	v_readfirstlane_b32 s19, v17
	s_clause 0x3
	global_store_b128 v44, v[20:23], s[18:19]
	global_store_b128 v44, v[26:29], s[18:19] offset:16
	global_store_b128 v44, v[26:29], s[18:19] offset:32
	;; [unrolled: 1-line block ×3, first 2 shown]
	s_wait_xcnt 0x0
	s_and_saveexec_b32 s1, s0
	s_cbranch_execz .LBB6_235
; %bb.228:                              ;   in Loop: Header=BB6_6 Depth=2
	s_clause 0x1
	global_load_b64 v[28:29], v1, s[14:15] offset:32 scope:SCOPE_SYS
	global_load_b64 v[20:21], v1, s[14:15] offset:40
	s_mov_b32 s18, exec_lo
	v_dual_mov_b32 v26, s16 :: v_dual_mov_b32 v27, s17
	s_wait_loadcnt 0x0
	v_and_b32_e32 v21, s17, v21
	v_and_b32_e32 v20, s16, v20
	s_delay_alu instid0(VALU_DEP_1) | instskip(NEXT) | instid1(VALU_DEP_1)
	v_mul_u64_e32 v[20:21], 24, v[20:21]
	v_add_nc_u64_e32 v[24:25], v[24:25], v[20:21]
	global_store_b64 v[24:25], v[28:29], off
	global_wb scope:SCOPE_SYS
	s_wait_storecnt 0x0
	s_wait_xcnt 0x0
	global_atomic_cmpswap_b64 v[22:23], v1, v[26:29], s[14:15] offset:32 th:TH_ATOMIC_RETURN scope:SCOPE_SYS
	s_wait_loadcnt 0x0
	v_cmpx_ne_u64_e64 v[22:23], v[28:29]
	s_cbranch_execz .LBB6_231
; %bb.229:                              ;   in Loop: Header=BB6_6 Depth=2
	s_mov_b32 s19, 0
.LBB6_230:                              ;   Parent Loop BB6_3 Depth=1
                                        ;     Parent Loop BB6_6 Depth=2
                                        ; =>    This Inner Loop Header: Depth=3
	v_dual_mov_b32 v20, s16 :: v_dual_mov_b32 v21, s17
	s_sleep 1
	global_store_b64 v[24:25], v[22:23], off
	global_wb scope:SCOPE_SYS
	s_wait_storecnt 0x0
	s_wait_xcnt 0x0
	global_atomic_cmpswap_b64 v[20:21], v1, v[20:23], s[14:15] offset:32 th:TH_ATOMIC_RETURN scope:SCOPE_SYS
	s_wait_loadcnt 0x0
	v_cmp_eq_u64_e32 vcc_lo, v[20:21], v[22:23]
	v_mov_b64_e32 v[22:23], v[20:21]
	s_or_b32 s19, vcc_lo, s19
	s_delay_alu instid0(SALU_CYCLE_1)
	s_and_not1_b32 exec_lo, exec_lo, s19
	s_cbranch_execnz .LBB6_230
.LBB6_231:                              ;   in Loop: Header=BB6_6 Depth=2
	s_or_b32 exec_lo, exec_lo, s18
	global_load_b64 v[20:21], v1, s[14:15] offset:16
	s_mov_b32 s19, exec_lo
	s_mov_b32 s18, exec_lo
	v_mbcnt_lo_u32_b32 v0, s19, 0
	s_wait_xcnt 0x0
	s_delay_alu instid0(VALU_DEP_1)
	v_cmpx_eq_u32_e32 0, v0
	s_cbranch_execz .LBB6_233
; %bb.232:                              ;   in Loop: Header=BB6_6 Depth=2
	s_bcnt1_i32_b32 s19, s19
	s_delay_alu instid0(SALU_CYCLE_1)
	v_mov_b32_e32 v0, s19
	global_wb scope:SCOPE_SYS
	s_wait_loadcnt 0x0
	s_wait_storecnt 0x0
	global_atomic_add_u64 v[20:21], v[0:1], off offset:8 scope:SCOPE_SYS
.LBB6_233:                              ;   in Loop: Header=BB6_6 Depth=2
	s_wait_xcnt 0x0
	s_or_b32 exec_lo, exec_lo, s18
	s_wait_loadcnt 0x0
	global_load_b64 v[22:23], v[20:21], off offset:16
	s_wait_loadcnt 0x0
	v_cmp_eq_u64_e32 vcc_lo, 0, v[22:23]
	s_cbranch_vccnz .LBB6_235
; %bb.234:                              ;   in Loop: Header=BB6_6 Depth=2
	global_load_b32 v0, v[20:21], off offset:24
	s_wait_loadcnt 0x0
	v_readfirstlane_b32 s18, v0
	global_wb scope:SCOPE_SYS
	s_wait_storecnt 0x0
	s_wait_xcnt 0x0
	global_store_b64 v[22:23], v[0:1], off scope:SCOPE_SYS
	s_and_b32 m0, s18, 0xffffff
	s_sendmsg sendmsg(MSG_INTERRUPT)
.LBB6_235:                              ;   in Loop: Header=BB6_6 Depth=2
	s_wait_xcnt 0x0
	s_or_b32 exec_lo, exec_lo, s1
	v_mov_b32_e32 v45, v1
	s_delay_alu instid0(VALU_DEP_1)
	v_add_nc_u64_e32 v[16:17], v[16:17], v[44:45]
	s_branch .LBB6_239
.LBB6_236:                              ;   in Loop: Header=BB6_239 Depth=3
	s_wait_xcnt 0x0
	s_or_b32 exec_lo, exec_lo, s1
	s_delay_alu instid0(VALU_DEP_1)
	v_readfirstlane_b32 s1, v0
	s_cmp_eq_u32 s1, 0
	s_cbranch_scc1 .LBB6_238
; %bb.237:                              ;   in Loop: Header=BB6_239 Depth=3
	s_sleep 1
	s_cbranch_execnz .LBB6_239
	s_branch .LBB6_241
.LBB6_238:                              ;   in Loop: Header=BB6_6 Depth=2
	s_branch .LBB6_241
.LBB6_239:                              ;   Parent Loop BB6_3 Depth=1
                                        ;     Parent Loop BB6_6 Depth=2
                                        ; =>    This Inner Loop Header: Depth=3
	v_mov_b32_e32 v0, 1
	s_and_saveexec_b32 s1, s0
	s_cbranch_execz .LBB6_236
; %bb.240:                              ;   in Loop: Header=BB6_239 Depth=3
	global_load_b32 v0, v[12:13], off offset:20 scope:SCOPE_SYS
	s_wait_loadcnt 0x0
	global_inv scope:SCOPE_SYS
	v_and_b32_e32 v0, 1, v0
	s_branch .LBB6_236
.LBB6_241:                              ;   in Loop: Header=BB6_6 Depth=2
	global_load_b64 v[22:23], v[16:17], off
	s_wait_xcnt 0x0
	s_and_saveexec_b32 s18, s0
	s_cbranch_execz .LBB6_245
; %bb.242:                              ;   in Loop: Header=BB6_6 Depth=2
	s_clause 0x2
	global_load_b64 v[12:13], v1, s[14:15] offset:40
	global_load_b64 v[28:29], v1, s[14:15] offset:24 scope:SCOPE_SYS
	global_load_b64 v[16:17], v1, s[14:15]
	s_wait_loadcnt 0x2
	v_readfirstlane_b32 s20, v12
	v_readfirstlane_b32 s21, v13
	s_add_nc_u64 s[0:1], s[20:21], 1
	s_delay_alu instid0(SALU_CYCLE_1) | instskip(NEXT) | instid1(SALU_CYCLE_1)
	s_add_nc_u64 s[16:17], s[0:1], s[16:17]
	s_cmp_eq_u64 s[16:17], 0
	s_cselect_b32 s1, s1, s17
	s_cselect_b32 s0, s0, s16
	s_delay_alu instid0(SALU_CYCLE_1) | instskip(SKIP_1) | instid1(SALU_CYCLE_1)
	v_dual_mov_b32 v27, s1 :: v_dual_mov_b32 v26, s0
	s_and_b64 s[16:17], s[0:1], s[20:21]
	s_mul_u64 s[16:17], s[16:17], 24
	s_wait_loadcnt 0x0
	v_add_nc_u64_e32 v[12:13], s[16:17], v[16:17]
	global_store_b64 v[12:13], v[28:29], off
	global_wb scope:SCOPE_SYS
	s_wait_storecnt 0x0
	s_wait_xcnt 0x0
	global_atomic_cmpswap_b64 v[26:27], v1, v[26:29], s[14:15] offset:24 th:TH_ATOMIC_RETURN scope:SCOPE_SYS
	s_wait_loadcnt 0x0
	v_cmp_ne_u64_e32 vcc_lo, v[26:27], v[28:29]
	s_and_b32 exec_lo, exec_lo, vcc_lo
	s_cbranch_execz .LBB6_245
; %bb.243:                              ;   in Loop: Header=BB6_6 Depth=2
	s_mov_b32 s16, 0
.LBB6_244:                              ;   Parent Loop BB6_3 Depth=1
                                        ;     Parent Loop BB6_6 Depth=2
                                        ; =>    This Inner Loop Header: Depth=3
	v_dual_mov_b32 v24, s0 :: v_dual_mov_b32 v25, s1
	s_sleep 1
	global_store_b64 v[12:13], v[26:27], off
	global_wb scope:SCOPE_SYS
	s_wait_storecnt 0x0
	s_wait_xcnt 0x0
	global_atomic_cmpswap_b64 v[16:17], v1, v[24:27], s[14:15] offset:24 th:TH_ATOMIC_RETURN scope:SCOPE_SYS
	s_wait_loadcnt 0x0
	v_cmp_eq_u64_e32 vcc_lo, v[16:17], v[26:27]
	v_mov_b64_e32 v[26:27], v[16:17]
	s_or_b32 s16, vcc_lo, s16
	s_delay_alu instid0(SALU_CYCLE_1)
	s_and_not1_b32 exec_lo, exec_lo, s16
	s_cbranch_execnz .LBB6_244
.LBB6_245:                              ;   in Loop: Header=BB6_6 Depth=2
	s_or_b32 exec_lo, exec_lo, s18
.LBB6_246:                              ;   in Loop: Header=BB6_6 Depth=2
	v_readfirstlane_b32 s0, v42
	v_mov_b64_e32 v[12:13], 0
	s_delay_alu instid0(VALU_DEP_2)
	v_cmp_eq_u32_e64 s0, s0, v42
	s_and_saveexec_b32 s1, s0
	s_cbranch_execz .LBB6_252
; %bb.247:                              ;   in Loop: Header=BB6_6 Depth=2
	global_load_b64 v[26:27], v1, s[14:15] offset:24 scope:SCOPE_SYS
	s_wait_loadcnt 0x0
	global_inv scope:SCOPE_SYS
	s_clause 0x1
	global_load_b64 v[12:13], v1, s[14:15] offset:40
	global_load_b64 v[16:17], v1, s[14:15]
	s_mov_b32 s16, exec_lo
	s_wait_loadcnt 0x1
	v_and_b32_e32 v12, v12, v26
	v_and_b32_e32 v13, v13, v27
	s_delay_alu instid0(VALU_DEP_1) | instskip(SKIP_1) | instid1(VALU_DEP_1)
	v_mul_u64_e32 v[12:13], 24, v[12:13]
	s_wait_loadcnt 0x0
	v_add_nc_u64_e32 v[12:13], v[16:17], v[12:13]
	global_load_b64 v[24:25], v[12:13], off scope:SCOPE_SYS
	s_wait_xcnt 0x0
	s_wait_loadcnt 0x0
	global_atomic_cmpswap_b64 v[12:13], v1, v[24:27], s[14:15] offset:24 th:TH_ATOMIC_RETURN scope:SCOPE_SYS
	s_wait_loadcnt 0x0
	global_inv scope:SCOPE_SYS
	s_wait_xcnt 0x0
	v_cmpx_ne_u64_e64 v[12:13], v[26:27]
	s_cbranch_execz .LBB6_251
; %bb.248:                              ;   in Loop: Header=BB6_6 Depth=2
	s_mov_b32 s17, 0
.LBB6_249:                              ;   Parent Loop BB6_3 Depth=1
                                        ;     Parent Loop BB6_6 Depth=2
                                        ; =>    This Inner Loop Header: Depth=3
	s_sleep 1
	s_clause 0x1
	global_load_b64 v[16:17], v1, s[14:15] offset:40
	global_load_b64 v[20:21], v1, s[14:15]
	v_mov_b64_e32 v[26:27], v[12:13]
	s_wait_loadcnt 0x1
	s_delay_alu instid0(VALU_DEP_1) | instskip(SKIP_1) | instid1(VALU_DEP_1)
	v_and_b32_e32 v0, v16, v26
	s_wait_loadcnt 0x0
	v_mad_nc_u64_u32 v[12:13], v0, 24, v[20:21]
	s_delay_alu instid0(VALU_DEP_3) | instskip(NEXT) | instid1(VALU_DEP_1)
	v_and_b32_e32 v0, v17, v27
	v_mad_u32 v13, v0, 24, v13
	global_load_b64 v[24:25], v[12:13], off scope:SCOPE_SYS
	s_wait_xcnt 0x0
	s_wait_loadcnt 0x0
	global_atomic_cmpswap_b64 v[12:13], v1, v[24:27], s[14:15] offset:24 th:TH_ATOMIC_RETURN scope:SCOPE_SYS
	s_wait_loadcnt 0x0
	global_inv scope:SCOPE_SYS
	v_cmp_eq_u64_e32 vcc_lo, v[12:13], v[26:27]
	s_or_b32 s17, vcc_lo, s17
	s_wait_xcnt 0x0
	s_and_not1_b32 exec_lo, exec_lo, s17
	s_cbranch_execnz .LBB6_249
; %bb.250:                              ;   in Loop: Header=BB6_6 Depth=2
	s_or_b32 exec_lo, exec_lo, s17
.LBB6_251:                              ;   in Loop: Header=BB6_6 Depth=2
	s_delay_alu instid0(SALU_CYCLE_1)
	s_or_b32 exec_lo, exec_lo, s16
.LBB6_252:                              ;   in Loop: Header=BB6_6 Depth=2
	s_delay_alu instid0(SALU_CYCLE_1)
	s_or_b32 exec_lo, exec_lo, s1
	s_clause 0x1
	global_load_b64 v[16:17], v1, s[14:15] offset:40
	global_load_b128 v[26:29], v1, s[14:15]
	v_readfirstlane_b32 s16, v12
	v_readfirstlane_b32 s17, v13
	s_mov_b32 s1, exec_lo
	s_wait_loadcnt 0x1
	v_and_b32_e32 v16, s16, v16
	v_and_b32_e32 v17, s17, v17
	s_delay_alu instid0(VALU_DEP_1) | instskip(SKIP_1) | instid1(VALU_DEP_1)
	v_mul_u64_e32 v[12:13], 24, v[16:17]
	s_wait_loadcnt 0x0
	v_add_nc_u64_e32 v[12:13], v[26:27], v[12:13]
	s_wait_xcnt 0x0
	s_and_saveexec_b32 s18, s0
	s_cbranch_execz .LBB6_254
; %bb.253:                              ;   in Loop: Header=BB6_6 Depth=2
	v_mov_b32_e32 v0, s1
	global_store_b128 v[12:13], v[0:3], off offset:8
.LBB6_254:                              ;   in Loop: Header=BB6_6 Depth=2
	s_wait_xcnt 0x0
	s_or_b32 exec_lo, exec_lo, s18
	v_lshlrev_b64_e32 v[16:17], 12, v[16:17]
	v_and_or_b32 v22, 0xffffff1f, v22, 32
	v_dual_mov_b32 v24, s30 :: v_dual_mov_b32 v25, v1
	s_delay_alu instid0(VALU_DEP_3) | instskip(SKIP_2) | instid1(VALU_DEP_3)
	v_add_nc_u64_e32 v[16:17], v[28:29], v[16:17]
	v_mov_b64_e32 v[30:31], s[6:7]
	v_mov_b64_e32 v[28:29], s[4:5]
	v_readfirstlane_b32 s18, v16
	s_delay_alu instid0(VALU_DEP_4)
	v_readfirstlane_b32 s19, v17
	s_clause 0x3
	global_store_b128 v44, v[22:25], s[18:19]
	global_store_b128 v44, v[28:31], s[18:19] offset:16
	global_store_b128 v44, v[28:31], s[18:19] offset:32
	;; [unrolled: 1-line block ×3, first 2 shown]
	s_wait_xcnt 0x0
	s_and_saveexec_b32 s1, s0
	s_cbranch_execz .LBB6_262
; %bb.255:                              ;   in Loop: Header=BB6_6 Depth=2
	s_clause 0x1
	global_load_b64 v[28:29], v1, s[14:15] offset:32 scope:SCOPE_SYS
	global_load_b64 v[20:21], v1, s[14:15] offset:40
	s_mov_b32 s18, exec_lo
	s_wait_loadcnt 0x0
	v_and_b32_e32 v20, s16, v20
	v_and_b32_e32 v21, s17, v21
	s_delay_alu instid0(VALU_DEP_1) | instskip(NEXT) | instid1(VALU_DEP_1)
	v_mul_u64_e32 v[20:21], 24, v[20:21]
	v_add_nc_u64_e32 v[24:25], v[26:27], v[20:21]
	v_dual_mov_b32 v26, s16 :: v_dual_mov_b32 v27, s17
	global_store_b64 v[24:25], v[28:29], off
	global_wb scope:SCOPE_SYS
	s_wait_storecnt 0x0
	s_wait_xcnt 0x0
	global_atomic_cmpswap_b64 v[22:23], v1, v[26:29], s[14:15] offset:32 th:TH_ATOMIC_RETURN scope:SCOPE_SYS
	s_wait_loadcnt 0x0
	v_cmpx_ne_u64_e64 v[22:23], v[28:29]
	s_cbranch_execz .LBB6_258
; %bb.256:                              ;   in Loop: Header=BB6_6 Depth=2
	s_mov_b32 s19, 0
.LBB6_257:                              ;   Parent Loop BB6_3 Depth=1
                                        ;     Parent Loop BB6_6 Depth=2
                                        ; =>    This Inner Loop Header: Depth=3
	v_dual_mov_b32 v20, s16 :: v_dual_mov_b32 v21, s17
	s_sleep 1
	global_store_b64 v[24:25], v[22:23], off
	global_wb scope:SCOPE_SYS
	s_wait_storecnt 0x0
	s_wait_xcnt 0x0
	global_atomic_cmpswap_b64 v[20:21], v1, v[20:23], s[14:15] offset:32 th:TH_ATOMIC_RETURN scope:SCOPE_SYS
	s_wait_loadcnt 0x0
	v_cmp_eq_u64_e32 vcc_lo, v[20:21], v[22:23]
	v_mov_b64_e32 v[22:23], v[20:21]
	s_or_b32 s19, vcc_lo, s19
	s_delay_alu instid0(SALU_CYCLE_1)
	s_and_not1_b32 exec_lo, exec_lo, s19
	s_cbranch_execnz .LBB6_257
.LBB6_258:                              ;   in Loop: Header=BB6_6 Depth=2
	s_or_b32 exec_lo, exec_lo, s18
	global_load_b64 v[20:21], v1, s[14:15] offset:16
	s_mov_b32 s19, exec_lo
	s_mov_b32 s18, exec_lo
	v_mbcnt_lo_u32_b32 v0, s19, 0
	s_wait_xcnt 0x0
	s_delay_alu instid0(VALU_DEP_1)
	v_cmpx_eq_u32_e32 0, v0
	s_cbranch_execz .LBB6_260
; %bb.259:                              ;   in Loop: Header=BB6_6 Depth=2
	s_bcnt1_i32_b32 s19, s19
	s_delay_alu instid0(SALU_CYCLE_1)
	v_mov_b32_e32 v0, s19
	global_wb scope:SCOPE_SYS
	s_wait_loadcnt 0x0
	s_wait_storecnt 0x0
	global_atomic_add_u64 v[20:21], v[0:1], off offset:8 scope:SCOPE_SYS
.LBB6_260:                              ;   in Loop: Header=BB6_6 Depth=2
	s_wait_xcnt 0x0
	s_or_b32 exec_lo, exec_lo, s18
	s_wait_loadcnt 0x0
	global_load_b64 v[22:23], v[20:21], off offset:16
	s_wait_loadcnt 0x0
	v_cmp_eq_u64_e32 vcc_lo, 0, v[22:23]
	s_cbranch_vccnz .LBB6_262
; %bb.261:                              ;   in Loop: Header=BB6_6 Depth=2
	global_load_b32 v0, v[20:21], off offset:24
	s_wait_loadcnt 0x0
	v_readfirstlane_b32 s18, v0
	global_wb scope:SCOPE_SYS
	s_wait_storecnt 0x0
	s_wait_xcnt 0x0
	global_store_b64 v[22:23], v[0:1], off scope:SCOPE_SYS
	s_and_b32 m0, s18, 0xffffff
	s_sendmsg sendmsg(MSG_INTERRUPT)
.LBB6_262:                              ;   in Loop: Header=BB6_6 Depth=2
	s_wait_xcnt 0x0
	s_or_b32 exec_lo, exec_lo, s1
	v_mov_b32_e32 v45, v1
	s_delay_alu instid0(VALU_DEP_1)
	v_add_nc_u64_e32 v[16:17], v[16:17], v[44:45]
	s_branch .LBB6_266
.LBB6_263:                              ;   in Loop: Header=BB6_266 Depth=3
	s_wait_xcnt 0x0
	s_or_b32 exec_lo, exec_lo, s1
	s_delay_alu instid0(VALU_DEP_1)
	v_readfirstlane_b32 s1, v0
	s_cmp_eq_u32 s1, 0
	s_cbranch_scc1 .LBB6_265
; %bb.264:                              ;   in Loop: Header=BB6_266 Depth=3
	s_sleep 1
	s_cbranch_execnz .LBB6_266
	s_branch .LBB6_268
.LBB6_265:                              ;   in Loop: Header=BB6_6 Depth=2
	s_branch .LBB6_268
.LBB6_266:                              ;   Parent Loop BB6_3 Depth=1
                                        ;     Parent Loop BB6_6 Depth=2
                                        ; =>    This Inner Loop Header: Depth=3
	v_mov_b32_e32 v0, 1
	s_and_saveexec_b32 s1, s0
	s_cbranch_execz .LBB6_263
; %bb.267:                              ;   in Loop: Header=BB6_266 Depth=3
	global_load_b32 v0, v[12:13], off offset:20 scope:SCOPE_SYS
	s_wait_loadcnt 0x0
	global_inv scope:SCOPE_SYS
	v_and_b32_e32 v0, 1, v0
	s_branch .LBB6_263
.LBB6_268:                              ;   in Loop: Header=BB6_6 Depth=2
	global_load_b64 v[12:13], v[16:17], off
	s_wait_xcnt 0x0
	s_and_saveexec_b32 s18, s0
	s_cbranch_execz .LBB6_272
; %bb.269:                              ;   in Loop: Header=BB6_6 Depth=2
	s_clause 0x2
	global_load_b64 v[16:17], v1, s[14:15] offset:40
	global_load_b64 v[24:25], v1, s[14:15] offset:24 scope:SCOPE_SYS
	global_load_b64 v[20:21], v1, s[14:15]
	s_wait_loadcnt 0x2
	v_readfirstlane_b32 s20, v16
	v_readfirstlane_b32 s21, v17
	s_add_nc_u64 s[0:1], s[20:21], 1
	s_delay_alu instid0(SALU_CYCLE_1) | instskip(NEXT) | instid1(SALU_CYCLE_1)
	s_add_nc_u64 s[16:17], s[0:1], s[16:17]
	s_cmp_eq_u64 s[16:17], 0
	s_cselect_b32 s1, s1, s17
	s_cselect_b32 s0, s0, s16
	s_delay_alu instid0(SALU_CYCLE_1) | instskip(SKIP_1) | instid1(SALU_CYCLE_1)
	v_dual_mov_b32 v23, s1 :: v_dual_mov_b32 v22, s0
	s_and_b64 s[16:17], s[0:1], s[20:21]
	s_mul_u64 s[16:17], s[16:17], 24
	s_wait_loadcnt 0x0
	v_add_nc_u64_e32 v[16:17], s[16:17], v[20:21]
	global_store_b64 v[16:17], v[24:25], off
	global_wb scope:SCOPE_SYS
	s_wait_storecnt 0x0
	s_wait_xcnt 0x0
	global_atomic_cmpswap_b64 v[22:23], v1, v[22:25], s[14:15] offset:24 th:TH_ATOMIC_RETURN scope:SCOPE_SYS
	s_wait_loadcnt 0x0
	v_cmp_ne_u64_e32 vcc_lo, v[22:23], v[24:25]
	s_and_b32 exec_lo, exec_lo, vcc_lo
	s_cbranch_execz .LBB6_272
; %bb.270:                              ;   in Loop: Header=BB6_6 Depth=2
	s_mov_b32 s16, 0
.LBB6_271:                              ;   Parent Loop BB6_3 Depth=1
                                        ;     Parent Loop BB6_6 Depth=2
                                        ; =>    This Inner Loop Header: Depth=3
	v_dual_mov_b32 v20, s0 :: v_dual_mov_b32 v21, s1
	s_sleep 1
	global_store_b64 v[16:17], v[22:23], off
	global_wb scope:SCOPE_SYS
	s_wait_storecnt 0x0
	s_wait_xcnt 0x0
	global_atomic_cmpswap_b64 v[20:21], v1, v[20:23], s[14:15] offset:24 th:TH_ATOMIC_RETURN scope:SCOPE_SYS
	s_wait_loadcnt 0x0
	v_cmp_eq_u64_e32 vcc_lo, v[20:21], v[22:23]
	v_mov_b64_e32 v[22:23], v[20:21]
	s_or_b32 s16, vcc_lo, s16
	s_delay_alu instid0(SALU_CYCLE_1)
	s_and_not1_b32 exec_lo, exec_lo, s16
	s_cbranch_execnz .LBB6_271
.LBB6_272:                              ;   in Loop: Header=BB6_6 Depth=2
	s_or_b32 exec_lo, exec_lo, s18
	v_readfirstlane_b32 s0, v42
	v_mov_b64_e32 v[16:17], 0
	s_delay_alu instid0(VALU_DEP_2)
	v_cmp_eq_u32_e64 s0, s0, v42
	s_and_saveexec_b32 s1, s0
	s_cbranch_execz .LBB6_278
; %bb.273:                              ;   in Loop: Header=BB6_6 Depth=2
	global_load_b64 v[22:23], v1, s[14:15] offset:24 scope:SCOPE_SYS
	s_wait_loadcnt 0x0
	global_inv scope:SCOPE_SYS
	s_clause 0x1
	global_load_b64 v[16:17], v1, s[14:15] offset:40
	global_load_b64 v[20:21], v1, s[14:15]
	s_mov_b32 s16, exec_lo
	s_wait_loadcnt 0x1
	v_and_b32_e32 v16, v16, v22
	v_and_b32_e32 v17, v17, v23
	s_delay_alu instid0(VALU_DEP_1) | instskip(SKIP_1) | instid1(VALU_DEP_1)
	v_mul_u64_e32 v[16:17], 24, v[16:17]
	s_wait_loadcnt 0x0
	v_add_nc_u64_e32 v[16:17], v[20:21], v[16:17]
	global_load_b64 v[20:21], v[16:17], off scope:SCOPE_SYS
	s_wait_xcnt 0x0
	s_wait_loadcnt 0x0
	global_atomic_cmpswap_b64 v[16:17], v1, v[20:23], s[14:15] offset:24 th:TH_ATOMIC_RETURN scope:SCOPE_SYS
	s_wait_loadcnt 0x0
	global_inv scope:SCOPE_SYS
	s_wait_xcnt 0x0
	v_cmpx_ne_u64_e64 v[16:17], v[22:23]
	s_cbranch_execz .LBB6_277
; %bb.274:                              ;   in Loop: Header=BB6_6 Depth=2
	s_mov_b32 s17, 0
.LBB6_275:                              ;   Parent Loop BB6_3 Depth=1
                                        ;     Parent Loop BB6_6 Depth=2
                                        ; =>    This Inner Loop Header: Depth=3
	s_sleep 1
	s_clause 0x1
	global_load_b64 v[20:21], v1, s[14:15] offset:40
	global_load_b64 v[24:25], v1, s[14:15]
	v_mov_b64_e32 v[22:23], v[16:17]
	s_wait_loadcnt 0x1
	s_delay_alu instid0(VALU_DEP_1) | instskip(SKIP_1) | instid1(VALU_DEP_1)
	v_and_b32_e32 v0, v20, v22
	s_wait_loadcnt 0x0
	v_mad_nc_u64_u32 v[16:17], v0, 24, v[24:25]
	s_delay_alu instid0(VALU_DEP_3) | instskip(NEXT) | instid1(VALU_DEP_1)
	v_and_b32_e32 v0, v21, v23
	v_mad_u32 v17, v0, 24, v17
	global_load_b64 v[20:21], v[16:17], off scope:SCOPE_SYS
	s_wait_xcnt 0x0
	s_wait_loadcnt 0x0
	global_atomic_cmpswap_b64 v[16:17], v1, v[20:23], s[14:15] offset:24 th:TH_ATOMIC_RETURN scope:SCOPE_SYS
	s_wait_loadcnt 0x0
	global_inv scope:SCOPE_SYS
	v_cmp_eq_u64_e32 vcc_lo, v[16:17], v[22:23]
	s_or_b32 s17, vcc_lo, s17
	s_wait_xcnt 0x0
	s_and_not1_b32 exec_lo, exec_lo, s17
	s_cbranch_execnz .LBB6_275
; %bb.276:                              ;   in Loop: Header=BB6_6 Depth=2
	s_or_b32 exec_lo, exec_lo, s17
.LBB6_277:                              ;   in Loop: Header=BB6_6 Depth=2
	s_delay_alu instid0(SALU_CYCLE_1)
	s_or_b32 exec_lo, exec_lo, s16
.LBB6_278:                              ;   in Loop: Header=BB6_6 Depth=2
	s_delay_alu instid0(SALU_CYCLE_1)
	s_or_b32 exec_lo, exec_lo, s1
	s_clause 0x1
	global_load_b64 v[24:25], v1, s[14:15] offset:40
	global_load_b128 v[20:23], v1, s[14:15]
	v_readfirstlane_b32 s16, v16
	v_readfirstlane_b32 s17, v17
	s_mov_b32 s1, exec_lo
	s_wait_loadcnt 0x1
	v_and_b32_e32 v24, s16, v24
	v_and_b32_e32 v25, s17, v25
	s_delay_alu instid0(VALU_DEP_1) | instskip(SKIP_1) | instid1(VALU_DEP_1)
	v_mul_u64_e32 v[16:17], 24, v[24:25]
	s_wait_loadcnt 0x0
	v_add_nc_u64_e32 v[16:17], v[20:21], v[16:17]
	s_wait_xcnt 0x0
	s_and_saveexec_b32 s18, s0
	s_cbranch_execz .LBB6_280
; %bb.279:                              ;   in Loop: Header=BB6_6 Depth=2
	v_mov_b32_e32 v0, s1
	global_store_b128 v[16:17], v[0:3], off offset:8
.LBB6_280:                              ;   in Loop: Header=BB6_6 Depth=2
	s_wait_xcnt 0x0
	s_or_b32 exec_lo, exec_lo, s18
	v_lshlrev_b64_e32 v[24:25], 12, v[24:25]
	v_mov_b64_e32 v[28:29], s[6:7]
	v_mov_b64_e32 v[26:27], s[4:5]
	v_and_or_b32 v12, 0xffffff1f, v12, 32
	s_delay_alu instid0(VALU_DEP_4) | instskip(NEXT) | instid1(VALU_DEP_1)
	v_add_nc_u64_e32 v[24:25], v[22:23], v[24:25]
	v_readfirstlane_b32 s18, v24
	s_delay_alu instid0(VALU_DEP_2)
	v_readfirstlane_b32 s19, v25
	s_clause 0x3
	global_store_b128 v44, v[12:15], s[18:19]
	global_store_b128 v44, v[26:29], s[18:19] offset:16
	global_store_b128 v44, v[26:29], s[18:19] offset:32
	;; [unrolled: 1-line block ×3, first 2 shown]
	s_wait_xcnt 0x0
	s_and_saveexec_b32 s1, s0
	s_cbranch_execz .LBB6_288
; %bb.281:                              ;   in Loop: Header=BB6_6 Depth=2
	s_clause 0x1
	global_load_b64 v[28:29], v1, s[14:15] offset:32 scope:SCOPE_SYS
	global_load_b64 v[12:13], v1, s[14:15] offset:40
	s_mov_b32 s18, exec_lo
	v_dual_mov_b32 v26, s16 :: v_dual_mov_b32 v27, s17
	s_wait_loadcnt 0x0
	v_and_b32_e32 v13, s17, v13
	v_and_b32_e32 v12, s16, v12
	s_delay_alu instid0(VALU_DEP_1) | instskip(NEXT) | instid1(VALU_DEP_1)
	v_mul_u64_e32 v[12:13], 24, v[12:13]
	v_add_nc_u64_e32 v[12:13], v[20:21], v[12:13]
	global_store_b64 v[12:13], v[28:29], off
	global_wb scope:SCOPE_SYS
	s_wait_storecnt 0x0
	s_wait_xcnt 0x0
	global_atomic_cmpswap_b64 v[22:23], v1, v[26:29], s[14:15] offset:32 th:TH_ATOMIC_RETURN scope:SCOPE_SYS
	s_wait_loadcnt 0x0
	v_cmpx_ne_u64_e64 v[22:23], v[28:29]
	s_cbranch_execz .LBB6_284
; %bb.282:                              ;   in Loop: Header=BB6_6 Depth=2
	s_mov_b32 s19, 0
.LBB6_283:                              ;   Parent Loop BB6_3 Depth=1
                                        ;     Parent Loop BB6_6 Depth=2
                                        ; =>    This Inner Loop Header: Depth=3
	v_dual_mov_b32 v20, s16 :: v_dual_mov_b32 v21, s17
	s_sleep 1
	global_store_b64 v[12:13], v[22:23], off
	global_wb scope:SCOPE_SYS
	s_wait_storecnt 0x0
	s_wait_xcnt 0x0
	global_atomic_cmpswap_b64 v[20:21], v1, v[20:23], s[14:15] offset:32 th:TH_ATOMIC_RETURN scope:SCOPE_SYS
	s_wait_loadcnt 0x0
	v_cmp_eq_u64_e32 vcc_lo, v[20:21], v[22:23]
	v_mov_b64_e32 v[22:23], v[20:21]
	s_or_b32 s19, vcc_lo, s19
	s_delay_alu instid0(SALU_CYCLE_1)
	s_and_not1_b32 exec_lo, exec_lo, s19
	s_cbranch_execnz .LBB6_283
.LBB6_284:                              ;   in Loop: Header=BB6_6 Depth=2
	s_or_b32 exec_lo, exec_lo, s18
	global_load_b64 v[12:13], v1, s[14:15] offset:16
	s_mov_b32 s19, exec_lo
	s_mov_b32 s18, exec_lo
	v_mbcnt_lo_u32_b32 v0, s19, 0
	s_wait_xcnt 0x0
	s_delay_alu instid0(VALU_DEP_1)
	v_cmpx_eq_u32_e32 0, v0
	s_cbranch_execz .LBB6_286
; %bb.285:                              ;   in Loop: Header=BB6_6 Depth=2
	s_bcnt1_i32_b32 s19, s19
	s_delay_alu instid0(SALU_CYCLE_1)
	v_mov_b32_e32 v0, s19
	global_wb scope:SCOPE_SYS
	s_wait_loadcnt 0x0
	s_wait_storecnt 0x0
	global_atomic_add_u64 v[12:13], v[0:1], off offset:8 scope:SCOPE_SYS
.LBB6_286:                              ;   in Loop: Header=BB6_6 Depth=2
	s_wait_xcnt 0x0
	s_or_b32 exec_lo, exec_lo, s18
	s_wait_loadcnt 0x0
	global_load_b64 v[20:21], v[12:13], off offset:16
	s_wait_loadcnt 0x0
	v_cmp_eq_u64_e32 vcc_lo, 0, v[20:21]
	s_cbranch_vccnz .LBB6_288
; %bb.287:                              ;   in Loop: Header=BB6_6 Depth=2
	global_load_b32 v0, v[12:13], off offset:24
	s_wait_loadcnt 0x0
	v_readfirstlane_b32 s18, v0
	global_wb scope:SCOPE_SYS
	s_wait_storecnt 0x0
	s_wait_xcnt 0x0
	global_store_b64 v[20:21], v[0:1], off scope:SCOPE_SYS
	s_and_b32 m0, s18, 0xffffff
	s_sendmsg sendmsg(MSG_INTERRUPT)
.LBB6_288:                              ;   in Loop: Header=BB6_6 Depth=2
	s_wait_xcnt 0x0
	s_or_b32 exec_lo, exec_lo, s1
	v_mov_b32_e32 v45, v1
	s_delay_alu instid0(VALU_DEP_1)
	v_add_nc_u64_e32 v[12:13], v[24:25], v[44:45]
	s_branch .LBB6_292
.LBB6_289:                              ;   in Loop: Header=BB6_292 Depth=3
	s_wait_xcnt 0x0
	s_or_b32 exec_lo, exec_lo, s1
	s_delay_alu instid0(VALU_DEP_1)
	v_readfirstlane_b32 s1, v0
	s_cmp_eq_u32 s1, 0
	s_cbranch_scc1 .LBB6_291
; %bb.290:                              ;   in Loop: Header=BB6_292 Depth=3
	s_sleep 1
	s_cbranch_execnz .LBB6_292
	s_branch .LBB6_294
.LBB6_291:                              ;   in Loop: Header=BB6_6 Depth=2
	s_branch .LBB6_294
.LBB6_292:                              ;   Parent Loop BB6_3 Depth=1
                                        ;     Parent Loop BB6_6 Depth=2
                                        ; =>    This Inner Loop Header: Depth=3
	v_mov_b32_e32 v0, 1
	s_and_saveexec_b32 s1, s0
	s_cbranch_execz .LBB6_289
; %bb.293:                              ;   in Loop: Header=BB6_292 Depth=3
	global_load_b32 v0, v[16:17], off offset:20 scope:SCOPE_SYS
	s_wait_loadcnt 0x0
	global_inv scope:SCOPE_SYS
	v_and_b32_e32 v0, 1, v0
	s_branch .LBB6_289
.LBB6_294:                              ;   in Loop: Header=BB6_6 Depth=2
	global_load_b64 v[20:21], v[12:13], off
	s_wait_xcnt 0x0
	s_and_saveexec_b32 s18, s0
	s_cbranch_execz .LBB6_298
; %bb.295:                              ;   in Loop: Header=BB6_6 Depth=2
	s_clause 0x2
	global_load_b64 v[12:13], v1, s[14:15] offset:40
	global_load_b64 v[26:27], v1, s[14:15] offset:24 scope:SCOPE_SYS
	global_load_b64 v[16:17], v1, s[14:15]
	s_wait_loadcnt 0x2
	v_readfirstlane_b32 s20, v12
	v_readfirstlane_b32 s21, v13
	s_add_nc_u64 s[0:1], s[20:21], 1
	s_delay_alu instid0(SALU_CYCLE_1) | instskip(NEXT) | instid1(SALU_CYCLE_1)
	s_add_nc_u64 s[16:17], s[0:1], s[16:17]
	s_cmp_eq_u64 s[16:17], 0
	s_cselect_b32 s1, s1, s17
	s_cselect_b32 s0, s0, s16
	s_delay_alu instid0(SALU_CYCLE_1) | instskip(SKIP_1) | instid1(SALU_CYCLE_1)
	v_dual_mov_b32 v25, s1 :: v_dual_mov_b32 v24, s0
	s_and_b64 s[16:17], s[0:1], s[20:21]
	s_mul_u64 s[16:17], s[16:17], 24
	s_wait_loadcnt 0x0
	v_add_nc_u64_e32 v[12:13], s[16:17], v[16:17]
	global_store_b64 v[12:13], v[26:27], off
	global_wb scope:SCOPE_SYS
	s_wait_storecnt 0x0
	s_wait_xcnt 0x0
	global_atomic_cmpswap_b64 v[24:25], v1, v[24:27], s[14:15] offset:24 th:TH_ATOMIC_RETURN scope:SCOPE_SYS
	s_wait_loadcnt 0x0
	v_cmp_ne_u64_e32 vcc_lo, v[24:25], v[26:27]
	s_and_b32 exec_lo, exec_lo, vcc_lo
	s_cbranch_execz .LBB6_298
; %bb.296:                              ;   in Loop: Header=BB6_6 Depth=2
	s_mov_b32 s16, 0
.LBB6_297:                              ;   Parent Loop BB6_3 Depth=1
                                        ;     Parent Loop BB6_6 Depth=2
                                        ; =>    This Inner Loop Header: Depth=3
	v_dual_mov_b32 v22, s0 :: v_dual_mov_b32 v23, s1
	s_sleep 1
	global_store_b64 v[12:13], v[24:25], off
	global_wb scope:SCOPE_SYS
	s_wait_storecnt 0x0
	s_wait_xcnt 0x0
	global_atomic_cmpswap_b64 v[16:17], v1, v[22:25], s[14:15] offset:24 th:TH_ATOMIC_RETURN scope:SCOPE_SYS
	s_wait_loadcnt 0x0
	v_cmp_eq_u64_e32 vcc_lo, v[16:17], v[24:25]
	v_mov_b64_e32 v[24:25], v[16:17]
	s_or_b32 s16, vcc_lo, s16
	s_delay_alu instid0(SALU_CYCLE_1)
	s_and_not1_b32 exec_lo, exec_lo, s16
	s_cbranch_execnz .LBB6_297
.LBB6_298:                              ;   in Loop: Header=BB6_6 Depth=2
	s_or_b32 exec_lo, exec_lo, s18
	v_readfirstlane_b32 s0, v42
	v_mov_b64_e32 v[12:13], 0
	s_delay_alu instid0(VALU_DEP_2)
	v_cmp_eq_u32_e64 s0, s0, v42
	s_and_saveexec_b32 s1, s0
	s_cbranch_execz .LBB6_304
; %bb.299:                              ;   in Loop: Header=BB6_6 Depth=2
	global_load_b64 v[24:25], v1, s[14:15] offset:24 scope:SCOPE_SYS
	s_wait_loadcnt 0x0
	global_inv scope:SCOPE_SYS
	s_clause 0x1
	global_load_b64 v[12:13], v1, s[14:15] offset:40
	global_load_b64 v[16:17], v1, s[14:15]
	s_mov_b32 s16, exec_lo
	s_wait_loadcnt 0x1
	v_and_b32_e32 v12, v12, v24
	v_and_b32_e32 v13, v13, v25
	s_delay_alu instid0(VALU_DEP_1) | instskip(SKIP_1) | instid1(VALU_DEP_1)
	v_mul_u64_e32 v[12:13], 24, v[12:13]
	s_wait_loadcnt 0x0
	v_add_nc_u64_e32 v[12:13], v[16:17], v[12:13]
	global_load_b64 v[22:23], v[12:13], off scope:SCOPE_SYS
	s_wait_xcnt 0x0
	s_wait_loadcnt 0x0
	global_atomic_cmpswap_b64 v[12:13], v1, v[22:25], s[14:15] offset:24 th:TH_ATOMIC_RETURN scope:SCOPE_SYS
	s_wait_loadcnt 0x0
	global_inv scope:SCOPE_SYS
	s_wait_xcnt 0x0
	v_cmpx_ne_u64_e64 v[12:13], v[24:25]
	s_cbranch_execz .LBB6_303
; %bb.300:                              ;   in Loop: Header=BB6_6 Depth=2
	s_mov_b32 s17, 0
.LBB6_301:                              ;   Parent Loop BB6_3 Depth=1
                                        ;     Parent Loop BB6_6 Depth=2
                                        ; =>    This Inner Loop Header: Depth=3
	s_sleep 1
	s_clause 0x1
	global_load_b64 v[16:17], v1, s[14:15] offset:40
	global_load_b64 v[22:23], v1, s[14:15]
	v_mov_b64_e32 v[24:25], v[12:13]
	s_wait_loadcnt 0x1
	s_delay_alu instid0(VALU_DEP_1) | instskip(SKIP_1) | instid1(VALU_DEP_1)
	v_and_b32_e32 v0, v16, v24
	s_wait_loadcnt 0x0
	v_mad_nc_u64_u32 v[12:13], v0, 24, v[22:23]
	s_delay_alu instid0(VALU_DEP_3) | instskip(NEXT) | instid1(VALU_DEP_1)
	v_and_b32_e32 v0, v17, v25
	v_mad_u32 v13, v0, 24, v13
	global_load_b64 v[22:23], v[12:13], off scope:SCOPE_SYS
	s_wait_xcnt 0x0
	s_wait_loadcnt 0x0
	global_atomic_cmpswap_b64 v[12:13], v1, v[22:25], s[14:15] offset:24 th:TH_ATOMIC_RETURN scope:SCOPE_SYS
	s_wait_loadcnt 0x0
	global_inv scope:SCOPE_SYS
	v_cmp_eq_u64_e32 vcc_lo, v[12:13], v[24:25]
	s_or_b32 s17, vcc_lo, s17
	s_wait_xcnt 0x0
	s_and_not1_b32 exec_lo, exec_lo, s17
	s_cbranch_execnz .LBB6_301
; %bb.302:                              ;   in Loop: Header=BB6_6 Depth=2
	s_or_b32 exec_lo, exec_lo, s17
.LBB6_303:                              ;   in Loop: Header=BB6_6 Depth=2
	s_delay_alu instid0(SALU_CYCLE_1)
	s_or_b32 exec_lo, exec_lo, s16
.LBB6_304:                              ;   in Loop: Header=BB6_6 Depth=2
	s_delay_alu instid0(SALU_CYCLE_1)
	s_or_b32 exec_lo, exec_lo, s1
	s_clause 0x1
	global_load_b64 v[16:17], v1, s[14:15] offset:40
	global_load_b128 v[24:27], v1, s[14:15]
	v_readfirstlane_b32 s16, v12
	v_readfirstlane_b32 s17, v13
	s_mov_b32 s1, exec_lo
	s_wait_loadcnt 0x1
	v_and_b32_e32 v16, s16, v16
	v_and_b32_e32 v17, s17, v17
	s_delay_alu instid0(VALU_DEP_1) | instskip(SKIP_1) | instid1(VALU_DEP_1)
	v_mul_u64_e32 v[12:13], 24, v[16:17]
	s_wait_loadcnt 0x0
	v_add_nc_u64_e32 v[12:13], v[24:25], v[12:13]
	s_wait_xcnt 0x0
	s_and_saveexec_b32 s18, s0
	s_cbranch_execz .LBB6_306
; %bb.305:                              ;   in Loop: Header=BB6_6 Depth=2
	v_mov_b32_e32 v0, s1
	global_store_b128 v[12:13], v[0:3], off offset:8
.LBB6_306:                              ;   in Loop: Header=BB6_6 Depth=2
	s_wait_xcnt 0x0
	s_or_b32 exec_lo, exec_lo, s18
	v_lshlrev_b64_e32 v[16:17], 12, v[16:17]
	v_and_or_b32 v20, 0xffffff1f, v20, 32
	v_dual_mov_b32 v22, s30 :: v_dual_mov_b32 v23, v1
	s_delay_alu instid0(VALU_DEP_3) | instskip(SKIP_2) | instid1(VALU_DEP_3)
	v_add_nc_u64_e32 v[16:17], v[26:27], v[16:17]
	v_mov_b64_e32 v[28:29], s[6:7]
	v_mov_b64_e32 v[26:27], s[4:5]
	v_readfirstlane_b32 s18, v16
	s_delay_alu instid0(VALU_DEP_4)
	v_readfirstlane_b32 s19, v17
	s_clause 0x3
	global_store_b128 v44, v[20:23], s[18:19]
	global_store_b128 v44, v[26:29], s[18:19] offset:16
	global_store_b128 v44, v[26:29], s[18:19] offset:32
	;; [unrolled: 1-line block ×3, first 2 shown]
	s_wait_xcnt 0x0
	s_and_saveexec_b32 s1, s0
	s_cbranch_execz .LBB6_314
; %bb.307:                              ;   in Loop: Header=BB6_6 Depth=2
	s_clause 0x1
	global_load_b64 v[28:29], v1, s[14:15] offset:32 scope:SCOPE_SYS
	global_load_b64 v[20:21], v1, s[14:15] offset:40
	s_mov_b32 s18, exec_lo
	v_dual_mov_b32 v26, s16 :: v_dual_mov_b32 v27, s17
	s_wait_loadcnt 0x0
	v_and_b32_e32 v21, s17, v21
	v_and_b32_e32 v20, s16, v20
	s_delay_alu instid0(VALU_DEP_1) | instskip(NEXT) | instid1(VALU_DEP_1)
	v_mul_u64_e32 v[20:21], 24, v[20:21]
	v_add_nc_u64_e32 v[24:25], v[24:25], v[20:21]
	global_store_b64 v[24:25], v[28:29], off
	global_wb scope:SCOPE_SYS
	s_wait_storecnt 0x0
	s_wait_xcnt 0x0
	global_atomic_cmpswap_b64 v[22:23], v1, v[26:29], s[14:15] offset:32 th:TH_ATOMIC_RETURN scope:SCOPE_SYS
	s_wait_loadcnt 0x0
	v_cmpx_ne_u64_e64 v[22:23], v[28:29]
	s_cbranch_execz .LBB6_310
; %bb.308:                              ;   in Loop: Header=BB6_6 Depth=2
	s_mov_b32 s19, 0
.LBB6_309:                              ;   Parent Loop BB6_3 Depth=1
                                        ;     Parent Loop BB6_6 Depth=2
                                        ; =>    This Inner Loop Header: Depth=3
	v_dual_mov_b32 v20, s16 :: v_dual_mov_b32 v21, s17
	s_sleep 1
	global_store_b64 v[24:25], v[22:23], off
	global_wb scope:SCOPE_SYS
	s_wait_storecnt 0x0
	s_wait_xcnt 0x0
	global_atomic_cmpswap_b64 v[20:21], v1, v[20:23], s[14:15] offset:32 th:TH_ATOMIC_RETURN scope:SCOPE_SYS
	s_wait_loadcnt 0x0
	v_cmp_eq_u64_e32 vcc_lo, v[20:21], v[22:23]
	v_mov_b64_e32 v[22:23], v[20:21]
	s_or_b32 s19, vcc_lo, s19
	s_delay_alu instid0(SALU_CYCLE_1)
	s_and_not1_b32 exec_lo, exec_lo, s19
	s_cbranch_execnz .LBB6_309
.LBB6_310:                              ;   in Loop: Header=BB6_6 Depth=2
	s_or_b32 exec_lo, exec_lo, s18
	global_load_b64 v[20:21], v1, s[14:15] offset:16
	s_mov_b32 s19, exec_lo
	s_mov_b32 s18, exec_lo
	v_mbcnt_lo_u32_b32 v0, s19, 0
	s_wait_xcnt 0x0
	s_delay_alu instid0(VALU_DEP_1)
	v_cmpx_eq_u32_e32 0, v0
	s_cbranch_execz .LBB6_312
; %bb.311:                              ;   in Loop: Header=BB6_6 Depth=2
	s_bcnt1_i32_b32 s19, s19
	s_delay_alu instid0(SALU_CYCLE_1)
	v_mov_b32_e32 v0, s19
	global_wb scope:SCOPE_SYS
	s_wait_loadcnt 0x0
	s_wait_storecnt 0x0
	global_atomic_add_u64 v[20:21], v[0:1], off offset:8 scope:SCOPE_SYS
.LBB6_312:                              ;   in Loop: Header=BB6_6 Depth=2
	s_wait_xcnt 0x0
	s_or_b32 exec_lo, exec_lo, s18
	s_wait_loadcnt 0x0
	global_load_b64 v[22:23], v[20:21], off offset:16
	s_wait_loadcnt 0x0
	v_cmp_eq_u64_e32 vcc_lo, 0, v[22:23]
	s_cbranch_vccnz .LBB6_314
; %bb.313:                              ;   in Loop: Header=BB6_6 Depth=2
	global_load_b32 v0, v[20:21], off offset:24
	s_wait_loadcnt 0x0
	v_readfirstlane_b32 s18, v0
	global_wb scope:SCOPE_SYS
	s_wait_storecnt 0x0
	s_wait_xcnt 0x0
	global_store_b64 v[22:23], v[0:1], off scope:SCOPE_SYS
	s_and_b32 m0, s18, 0xffffff
	s_sendmsg sendmsg(MSG_INTERRUPT)
.LBB6_314:                              ;   in Loop: Header=BB6_6 Depth=2
	s_wait_xcnt 0x0
	s_or_b32 exec_lo, exec_lo, s1
	v_mov_b32_e32 v45, v1
	s_delay_alu instid0(VALU_DEP_1)
	v_add_nc_u64_e32 v[16:17], v[16:17], v[44:45]
	s_branch .LBB6_318
.LBB6_315:                              ;   in Loop: Header=BB6_318 Depth=3
	s_wait_xcnt 0x0
	s_or_b32 exec_lo, exec_lo, s1
	s_delay_alu instid0(VALU_DEP_1)
	v_readfirstlane_b32 s1, v0
	s_cmp_eq_u32 s1, 0
	s_cbranch_scc1 .LBB6_317
; %bb.316:                              ;   in Loop: Header=BB6_318 Depth=3
	s_sleep 1
	s_cbranch_execnz .LBB6_318
	s_branch .LBB6_320
.LBB6_317:                              ;   in Loop: Header=BB6_6 Depth=2
	s_branch .LBB6_320
.LBB6_318:                              ;   Parent Loop BB6_3 Depth=1
                                        ;     Parent Loop BB6_6 Depth=2
                                        ; =>    This Inner Loop Header: Depth=3
	v_mov_b32_e32 v0, 1
	s_and_saveexec_b32 s1, s0
	s_cbranch_execz .LBB6_315
; %bb.319:                              ;   in Loop: Header=BB6_318 Depth=3
	global_load_b32 v0, v[12:13], off offset:20 scope:SCOPE_SYS
	s_wait_loadcnt 0x0
	global_inv scope:SCOPE_SYS
	v_and_b32_e32 v0, 1, v0
	s_branch .LBB6_315
.LBB6_320:                              ;   in Loop: Header=BB6_6 Depth=2
	global_load_b64 v[16:17], v[16:17], off
	s_wait_xcnt 0x0
	s_and_saveexec_b32 s18, s0
	s_cbranch_execz .LBB6_324
; %bb.321:                              ;   in Loop: Header=BB6_6 Depth=2
	s_clause 0x2
	global_load_b64 v[12:13], v1, s[14:15] offset:40
	global_load_b64 v[24:25], v1, s[14:15] offset:24 scope:SCOPE_SYS
	global_load_b64 v[20:21], v1, s[14:15]
	s_wait_loadcnt 0x2
	v_readfirstlane_b32 s20, v12
	v_readfirstlane_b32 s21, v13
	s_add_nc_u64 s[0:1], s[20:21], 1
	s_delay_alu instid0(SALU_CYCLE_1) | instskip(NEXT) | instid1(SALU_CYCLE_1)
	s_add_nc_u64 s[16:17], s[0:1], s[16:17]
	s_cmp_eq_u64 s[16:17], 0
	s_cselect_b32 s1, s1, s17
	s_cselect_b32 s0, s0, s16
	s_delay_alu instid0(SALU_CYCLE_1) | instskip(SKIP_1) | instid1(SALU_CYCLE_1)
	v_dual_mov_b32 v23, s1 :: v_dual_mov_b32 v22, s0
	s_and_b64 s[16:17], s[0:1], s[20:21]
	s_mul_u64 s[16:17], s[16:17], 24
	s_wait_loadcnt 0x0
	v_add_nc_u64_e32 v[12:13], s[16:17], v[20:21]
	global_store_b64 v[12:13], v[24:25], off
	global_wb scope:SCOPE_SYS
	s_wait_storecnt 0x0
	s_wait_xcnt 0x0
	global_atomic_cmpswap_b64 v[22:23], v1, v[22:25], s[14:15] offset:24 th:TH_ATOMIC_RETURN scope:SCOPE_SYS
	s_wait_loadcnt 0x0
	v_cmp_ne_u64_e32 vcc_lo, v[22:23], v[24:25]
	s_and_b32 exec_lo, exec_lo, vcc_lo
	s_cbranch_execz .LBB6_324
; %bb.322:                              ;   in Loop: Header=BB6_6 Depth=2
	s_mov_b32 s16, 0
.LBB6_323:                              ;   Parent Loop BB6_3 Depth=1
                                        ;     Parent Loop BB6_6 Depth=2
                                        ; =>    This Inner Loop Header: Depth=3
	v_dual_mov_b32 v20, s0 :: v_dual_mov_b32 v21, s1
	s_sleep 1
	global_store_b64 v[12:13], v[22:23], off
	global_wb scope:SCOPE_SYS
	s_wait_storecnt 0x0
	s_wait_xcnt 0x0
	global_atomic_cmpswap_b64 v[20:21], v1, v[20:23], s[14:15] offset:24 th:TH_ATOMIC_RETURN scope:SCOPE_SYS
	s_wait_loadcnt 0x0
	v_cmp_eq_u64_e32 vcc_lo, v[20:21], v[22:23]
	v_mov_b64_e32 v[22:23], v[20:21]
	s_or_b32 s16, vcc_lo, s16
	s_delay_alu instid0(SALU_CYCLE_1)
	s_and_not1_b32 exec_lo, exec_lo, s16
	s_cbranch_execnz .LBB6_323
.LBB6_324:                              ;   in Loop: Header=BB6_6 Depth=2
	s_or_b32 exec_lo, exec_lo, s18
	v_readfirstlane_b32 s0, v42
	v_mov_b64_e32 v[12:13], 0
	s_delay_alu instid0(VALU_DEP_2)
	v_cmp_eq_u32_e64 s0, s0, v42
	s_and_saveexec_b32 s1, s0
	s_cbranch_execz .LBB6_330
; %bb.325:                              ;   in Loop: Header=BB6_6 Depth=2
	global_load_b64 v[22:23], v1, s[14:15] offset:24 scope:SCOPE_SYS
	s_wait_loadcnt 0x0
	global_inv scope:SCOPE_SYS
	s_clause 0x1
	global_load_b64 v[12:13], v1, s[14:15] offset:40
	global_load_b64 v[20:21], v1, s[14:15]
	s_mov_b32 s16, exec_lo
	s_wait_loadcnt 0x1
	v_and_b32_e32 v12, v12, v22
	v_and_b32_e32 v13, v13, v23
	s_delay_alu instid0(VALU_DEP_1) | instskip(SKIP_1) | instid1(VALU_DEP_1)
	v_mul_u64_e32 v[12:13], 24, v[12:13]
	s_wait_loadcnt 0x0
	v_add_nc_u64_e32 v[12:13], v[20:21], v[12:13]
	global_load_b64 v[20:21], v[12:13], off scope:SCOPE_SYS
	s_wait_xcnt 0x0
	s_wait_loadcnt 0x0
	global_atomic_cmpswap_b64 v[12:13], v1, v[20:23], s[14:15] offset:24 th:TH_ATOMIC_RETURN scope:SCOPE_SYS
	s_wait_loadcnt 0x0
	global_inv scope:SCOPE_SYS
	s_wait_xcnt 0x0
	v_cmpx_ne_u64_e64 v[12:13], v[22:23]
	s_cbranch_execz .LBB6_329
; %bb.326:                              ;   in Loop: Header=BB6_6 Depth=2
	s_mov_b32 s17, 0
.LBB6_327:                              ;   Parent Loop BB6_3 Depth=1
                                        ;     Parent Loop BB6_6 Depth=2
                                        ; =>    This Inner Loop Header: Depth=3
	s_sleep 1
	s_clause 0x1
	global_load_b64 v[20:21], v1, s[14:15] offset:40
	global_load_b64 v[24:25], v1, s[14:15]
	v_mov_b64_e32 v[22:23], v[12:13]
	s_wait_loadcnt 0x1
	s_delay_alu instid0(VALU_DEP_1) | instskip(SKIP_1) | instid1(VALU_DEP_1)
	v_and_b32_e32 v0, v20, v22
	s_wait_loadcnt 0x0
	v_mad_nc_u64_u32 v[12:13], v0, 24, v[24:25]
	s_delay_alu instid0(VALU_DEP_3) | instskip(NEXT) | instid1(VALU_DEP_1)
	v_and_b32_e32 v0, v21, v23
	v_mad_u32 v13, v0, 24, v13
	global_load_b64 v[20:21], v[12:13], off scope:SCOPE_SYS
	s_wait_xcnt 0x0
	s_wait_loadcnt 0x0
	global_atomic_cmpswap_b64 v[12:13], v1, v[20:23], s[14:15] offset:24 th:TH_ATOMIC_RETURN scope:SCOPE_SYS
	s_wait_loadcnt 0x0
	global_inv scope:SCOPE_SYS
	v_cmp_eq_u64_e32 vcc_lo, v[12:13], v[22:23]
	s_or_b32 s17, vcc_lo, s17
	s_wait_xcnt 0x0
	s_and_not1_b32 exec_lo, exec_lo, s17
	s_cbranch_execnz .LBB6_327
; %bb.328:                              ;   in Loop: Header=BB6_6 Depth=2
	s_or_b32 exec_lo, exec_lo, s17
.LBB6_329:                              ;   in Loop: Header=BB6_6 Depth=2
	s_delay_alu instid0(SALU_CYCLE_1)
	s_or_b32 exec_lo, exec_lo, s16
.LBB6_330:                              ;   in Loop: Header=BB6_6 Depth=2
	s_delay_alu instid0(SALU_CYCLE_1)
	s_or_b32 exec_lo, exec_lo, s1
	s_clause 0x1
	global_load_b64 v[24:25], v1, s[14:15] offset:40
	global_load_b128 v[20:23], v1, s[14:15]
	v_readfirstlane_b32 s16, v12
	v_readfirstlane_b32 s17, v13
	s_mov_b32 s1, exec_lo
	s_wait_loadcnt 0x1
	v_and_b32_e32 v24, s16, v24
	v_and_b32_e32 v25, s17, v25
	s_delay_alu instid0(VALU_DEP_1) | instskip(SKIP_1) | instid1(VALU_DEP_1)
	v_mul_u64_e32 v[12:13], 24, v[24:25]
	s_wait_loadcnt 0x0
	v_add_nc_u64_e32 v[12:13], v[20:21], v[12:13]
	s_wait_xcnt 0x0
	s_and_saveexec_b32 s18, s0
	s_cbranch_execz .LBB6_332
; %bb.331:                              ;   in Loop: Header=BB6_6 Depth=2
	v_mov_b32_e32 v0, s1
	global_store_b128 v[12:13], v[0:3], off offset:8
.LBB6_332:                              ;   in Loop: Header=BB6_6 Depth=2
	s_wait_xcnt 0x0
	s_or_b32 exec_lo, exec_lo, s18
	v_lshlrev_b64_e32 v[24:25], 12, v[24:25]
	v_and_or_b32 v16, 0xffffff1d, v16, 34
	s_delay_alu instid0(VALU_DEP_2) | instskip(NEXT) | instid1(VALU_DEP_1)
	v_add_nc_u64_e32 v[22:23], v[22:23], v[24:25]
	v_readfirstlane_b32 s18, v22
	s_delay_alu instid0(VALU_DEP_2)
	v_readfirstlane_b32 s19, v23
	v_mov_b64_e32 v[24:25], s[6:7]
	v_mov_b64_e32 v[22:23], s[4:5]
	s_clause 0x3
	global_store_b128 v44, v[16:19], s[18:19]
	global_store_b128 v44, v[22:25], s[18:19] offset:16
	global_store_b128 v44, v[22:25], s[18:19] offset:32
	;; [unrolled: 1-line block ×3, first 2 shown]
	s_wait_xcnt 0x0
	s_and_saveexec_b32 s1, s0
	s_cbranch_execz .LBB6_340
; %bb.333:                              ;   in Loop: Header=BB6_6 Depth=2
	s_clause 0x1
	global_load_b64 v[24:25], v1, s[14:15] offset:32 scope:SCOPE_SYS
	global_load_b64 v[16:17], v1, s[14:15] offset:40
	s_mov_b32 s18, exec_lo
	v_dual_mov_b32 v22, s16 :: v_dual_mov_b32 v23, s17
	s_wait_loadcnt 0x0
	v_and_b32_e32 v17, s17, v17
	v_and_b32_e32 v16, s16, v16
	s_delay_alu instid0(VALU_DEP_1) | instskip(NEXT) | instid1(VALU_DEP_1)
	v_mul_u64_e32 v[16:17], 24, v[16:17]
	v_add_nc_u64_e32 v[16:17], v[20:21], v[16:17]
	global_store_b64 v[16:17], v[24:25], off
	global_wb scope:SCOPE_SYS
	s_wait_storecnt 0x0
	s_wait_xcnt 0x0
	global_atomic_cmpswap_b64 v[22:23], v1, v[22:25], s[14:15] offset:32 th:TH_ATOMIC_RETURN scope:SCOPE_SYS
	s_wait_loadcnt 0x0
	v_cmpx_ne_u64_e64 v[22:23], v[24:25]
	s_cbranch_execz .LBB6_336
; %bb.334:                              ;   in Loop: Header=BB6_6 Depth=2
	s_mov_b32 s19, 0
.LBB6_335:                              ;   Parent Loop BB6_3 Depth=1
                                        ;     Parent Loop BB6_6 Depth=2
                                        ; =>    This Inner Loop Header: Depth=3
	v_dual_mov_b32 v20, s16 :: v_dual_mov_b32 v21, s17
	s_sleep 1
	global_store_b64 v[16:17], v[22:23], off
	global_wb scope:SCOPE_SYS
	s_wait_storecnt 0x0
	s_wait_xcnt 0x0
	global_atomic_cmpswap_b64 v[20:21], v1, v[20:23], s[14:15] offset:32 th:TH_ATOMIC_RETURN scope:SCOPE_SYS
	s_wait_loadcnt 0x0
	v_cmp_eq_u64_e32 vcc_lo, v[20:21], v[22:23]
	v_mov_b64_e32 v[22:23], v[20:21]
	s_or_b32 s19, vcc_lo, s19
	s_delay_alu instid0(SALU_CYCLE_1)
	s_and_not1_b32 exec_lo, exec_lo, s19
	s_cbranch_execnz .LBB6_335
.LBB6_336:                              ;   in Loop: Header=BB6_6 Depth=2
	s_or_b32 exec_lo, exec_lo, s18
	global_load_b64 v[16:17], v1, s[14:15] offset:16
	s_mov_b32 s19, exec_lo
	s_mov_b32 s18, exec_lo
	v_mbcnt_lo_u32_b32 v0, s19, 0
	s_wait_xcnt 0x0
	s_delay_alu instid0(VALU_DEP_1)
	v_cmpx_eq_u32_e32 0, v0
	s_cbranch_execz .LBB6_338
; %bb.337:                              ;   in Loop: Header=BB6_6 Depth=2
	s_bcnt1_i32_b32 s19, s19
	s_delay_alu instid0(SALU_CYCLE_1)
	v_mov_b32_e32 v0, s19
	global_wb scope:SCOPE_SYS
	s_wait_loadcnt 0x0
	s_wait_storecnt 0x0
	global_atomic_add_u64 v[16:17], v[0:1], off offset:8 scope:SCOPE_SYS
.LBB6_338:                              ;   in Loop: Header=BB6_6 Depth=2
	s_wait_xcnt 0x0
	s_or_b32 exec_lo, exec_lo, s18
	s_wait_loadcnt 0x0
	global_load_b64 v[20:21], v[16:17], off offset:16
	s_wait_loadcnt 0x0
	v_cmp_eq_u64_e32 vcc_lo, 0, v[20:21]
	s_cbranch_vccnz .LBB6_340
; %bb.339:                              ;   in Loop: Header=BB6_6 Depth=2
	global_load_b32 v0, v[16:17], off offset:24
	s_wait_loadcnt 0x0
	v_readfirstlane_b32 s18, v0
	global_wb scope:SCOPE_SYS
	s_wait_storecnt 0x0
	s_wait_xcnt 0x0
	global_store_b64 v[20:21], v[0:1], off scope:SCOPE_SYS
	s_and_b32 m0, s18, 0xffffff
	s_sendmsg sendmsg(MSG_INTERRUPT)
.LBB6_340:                              ;   in Loop: Header=BB6_6 Depth=2
	s_wait_xcnt 0x0
	s_or_b32 exec_lo, exec_lo, s1
	s_branch .LBB6_344
.LBB6_341:                              ;   in Loop: Header=BB6_344 Depth=3
	s_wait_xcnt 0x0
	s_or_b32 exec_lo, exec_lo, s1
	s_delay_alu instid0(VALU_DEP_1)
	v_readfirstlane_b32 s1, v0
	s_cmp_eq_u32 s1, 0
	s_cbranch_scc1 .LBB6_343
; %bb.342:                              ;   in Loop: Header=BB6_344 Depth=3
	s_sleep 1
	s_cbranch_execnz .LBB6_344
	s_branch .LBB6_346
.LBB6_343:                              ;   in Loop: Header=BB6_6 Depth=2
	s_branch .LBB6_346
.LBB6_344:                              ;   Parent Loop BB6_3 Depth=1
                                        ;     Parent Loop BB6_6 Depth=2
                                        ; =>    This Inner Loop Header: Depth=3
	v_mov_b32_e32 v0, 1
	s_and_saveexec_b32 s1, s0
	s_cbranch_execz .LBB6_341
; %bb.345:                              ;   in Loop: Header=BB6_344 Depth=3
	global_load_b32 v0, v[12:13], off offset:20 scope:SCOPE_SYS
	s_wait_loadcnt 0x0
	global_inv scope:SCOPE_SYS
	v_and_b32_e32 v0, 1, v0
	s_branch .LBB6_341
.LBB6_346:                              ;   in Loop: Header=BB6_6 Depth=2
	s_and_saveexec_b32 s18, s0
	s_cbranch_execz .LBB6_5
; %bb.347:                              ;   in Loop: Header=BB6_6 Depth=2
	s_clause 0x2
	global_load_b64 v[12:13], v1, s[14:15] offset:40
	global_load_b64 v[24:25], v1, s[14:15] offset:24 scope:SCOPE_SYS
	global_load_b64 v[16:17], v1, s[14:15]
	s_wait_loadcnt 0x2
	v_readfirstlane_b32 s20, v12
	v_readfirstlane_b32 s21, v13
	s_add_nc_u64 s[0:1], s[20:21], 1
	s_delay_alu instid0(SALU_CYCLE_1) | instskip(NEXT) | instid1(SALU_CYCLE_1)
	s_add_nc_u64 s[16:17], s[0:1], s[16:17]
	s_cmp_eq_u64 s[16:17], 0
	s_cselect_b32 s1, s1, s17
	s_cselect_b32 s0, s0, s16
	s_delay_alu instid0(SALU_CYCLE_1) | instskip(SKIP_1) | instid1(SALU_CYCLE_1)
	v_dual_mov_b32 v23, s1 :: v_dual_mov_b32 v22, s0
	s_and_b64 s[16:17], s[0:1], s[20:21]
	s_mul_u64 s[16:17], s[16:17], 24
	s_wait_loadcnt 0x0
	v_add_nc_u64_e32 v[12:13], s[16:17], v[16:17]
	global_store_b64 v[12:13], v[24:25], off
	global_wb scope:SCOPE_SYS
	s_wait_storecnt 0x0
	s_wait_xcnt 0x0
	global_atomic_cmpswap_b64 v[22:23], v1, v[22:25], s[14:15] offset:24 th:TH_ATOMIC_RETURN scope:SCOPE_SYS
	s_wait_loadcnt 0x0
	v_cmp_ne_u64_e32 vcc_lo, v[22:23], v[24:25]
	s_and_b32 exec_lo, exec_lo, vcc_lo
	s_cbranch_execz .LBB6_5
; %bb.348:                              ;   in Loop: Header=BB6_6 Depth=2
	s_mov_b32 s16, 0
.LBB6_349:                              ;   Parent Loop BB6_3 Depth=1
                                        ;     Parent Loop BB6_6 Depth=2
                                        ; =>    This Inner Loop Header: Depth=3
	v_dual_mov_b32 v20, s0 :: v_dual_mov_b32 v21, s1
	s_sleep 1
	global_store_b64 v[12:13], v[22:23], off
	global_wb scope:SCOPE_SYS
	s_wait_storecnt 0x0
	s_wait_xcnt 0x0
	global_atomic_cmpswap_b64 v[16:17], v1, v[20:23], s[14:15] offset:24 th:TH_ATOMIC_RETURN scope:SCOPE_SYS
	s_wait_loadcnt 0x0
	v_cmp_eq_u64_e32 vcc_lo, v[16:17], v[22:23]
	v_mov_b64_e32 v[22:23], v[16:17]
	s_or_b32 s16, vcc_lo, s16
	s_delay_alu instid0(SALU_CYCLE_1)
	s_and_not1_b32 exec_lo, exec_lo, s16
	s_cbranch_execnz .LBB6_349
	s_branch .LBB6_5
.LBB6_350:
	s_endpgm
	.section	.rodata,"a",@progbits
	.p2align	6, 0x0
	.amdhsa_kernel _ZN19hipPrintfStressTest26kernel_decimal_calculationEji
		.amdhsa_group_segment_fixed_size 0
		.amdhsa_private_segment_fixed_size 0
		.amdhsa_kernarg_size 264
		.amdhsa_user_sgpr_count 2
		.amdhsa_user_sgpr_dispatch_ptr 0
		.amdhsa_user_sgpr_queue_ptr 0
		.amdhsa_user_sgpr_kernarg_segment_ptr 1
		.amdhsa_user_sgpr_dispatch_id 0
		.amdhsa_user_sgpr_kernarg_preload_length 0
		.amdhsa_user_sgpr_kernarg_preload_offset 0
		.amdhsa_user_sgpr_private_segment_size 0
		.amdhsa_wavefront_size32 1
		.amdhsa_uses_dynamic_stack 0
		.amdhsa_enable_private_segment 0
		.amdhsa_system_sgpr_workgroup_id_x 1
		.amdhsa_system_sgpr_workgroup_id_y 0
		.amdhsa_system_sgpr_workgroup_id_z 0
		.amdhsa_system_sgpr_workgroup_info 0
		.amdhsa_system_vgpr_workitem_id 0
		.amdhsa_next_free_vgpr 50
		.amdhsa_next_free_sgpr 36
		.amdhsa_named_barrier_count 0
		.amdhsa_reserve_vcc 1
		.amdhsa_float_round_mode_32 0
		.amdhsa_float_round_mode_16_64 0
		.amdhsa_float_denorm_mode_32 3
		.amdhsa_float_denorm_mode_16_64 3
		.amdhsa_fp16_overflow 0
		.amdhsa_memory_ordered 1
		.amdhsa_forward_progress 1
		.amdhsa_inst_pref_size 116
		.amdhsa_round_robin_scheduling 0
		.amdhsa_exception_fp_ieee_invalid_op 0
		.amdhsa_exception_fp_denorm_src 0
		.amdhsa_exception_fp_ieee_div_zero 0
		.amdhsa_exception_fp_ieee_overflow 0
		.amdhsa_exception_fp_ieee_underflow 0
		.amdhsa_exception_fp_ieee_inexact 0
		.amdhsa_exception_int_div_zero 0
	.end_amdhsa_kernel
	.text
.Lfunc_end6:
	.size	_ZN19hipPrintfStressTest26kernel_decimal_calculationEji, .Lfunc_end6-_ZN19hipPrintfStressTest26kernel_decimal_calculationEji
                                        ; -- End function
	.set _ZN19hipPrintfStressTest26kernel_decimal_calculationEji.num_vgpr, 50
	.set _ZN19hipPrintfStressTest26kernel_decimal_calculationEji.num_agpr, 0
	.set _ZN19hipPrintfStressTest26kernel_decimal_calculationEji.numbered_sgpr, 36
	.set _ZN19hipPrintfStressTest26kernel_decimal_calculationEji.num_named_barrier, 0
	.set _ZN19hipPrintfStressTest26kernel_decimal_calculationEji.private_seg_size, 0
	.set _ZN19hipPrintfStressTest26kernel_decimal_calculationEji.uses_vcc, 1
	.set _ZN19hipPrintfStressTest26kernel_decimal_calculationEji.uses_flat_scratch, 0
	.set _ZN19hipPrintfStressTest26kernel_decimal_calculationEji.has_dyn_sized_stack, 0
	.set _ZN19hipPrintfStressTest26kernel_decimal_calculationEji.has_recursion, 0
	.set _ZN19hipPrintfStressTest26kernel_decimal_calculationEji.has_indirect_call, 0
	.section	.AMDGPU.csdata,"",@progbits
; Kernel info:
; codeLenInByte = 14768
; TotalNumSgprs: 38
; NumVgprs: 50
; ScratchSize: 0
; MemoryBound: 0
; FloatMode: 240
; IeeeMode: 1
; LDSByteSize: 0 bytes/workgroup (compile time only)
; SGPRBlocks: 0
; VGPRBlocks: 3
; NumSGPRsForWavesPerEU: 38
; NumVGPRsForWavesPerEU: 50
; NamedBarCnt: 0
; Occupancy: 16
; WaveLimiterHint : 1
; COMPUTE_PGM_RSRC2:SCRATCH_EN: 0
; COMPUTE_PGM_RSRC2:USER_SGPR: 2
; COMPUTE_PGM_RSRC2:TRAP_HANDLER: 0
; COMPUTE_PGM_RSRC2:TGID_X_EN: 1
; COMPUTE_PGM_RSRC2:TGID_Y_EN: 0
; COMPUTE_PGM_RSRC2:TGID_Z_EN: 0
; COMPUTE_PGM_RSRC2:TIDIG_COMP_CNT: 0
	.text
	.protected	_ZN19hipPrintfStressTest17kernel_shared_memEv ; -- Begin function _ZN19hipPrintfStressTest17kernel_shared_memEv
	.globl	_ZN19hipPrintfStressTest17kernel_shared_memEv
	.p2align	8
	.type	_ZN19hipPrintfStressTest17kernel_shared_memEv,@function
_ZN19hipPrintfStressTest17kernel_shared_memEv: ; @_ZN19hipPrintfStressTest17kernel_shared_memEv
; %bb.0:
	v_mov_b32_e32 v1, 0
	s_mov_b32 s3, exec_lo
	s_mov_b32 s2, 0
	ds_store_b32 v1, v1
	s_wait_dscnt 0x0
	s_barrier_signal -1
	s_barrier_wait -1
.LBB7_1:                                ; =>This Inner Loop Header: Depth=1
	s_ctz_i32_b32 s4, s3
	s_delay_alu instid0(SALU_CYCLE_1) | instskip(SKIP_1) | instid1(SALU_CYCLE_1)
	v_readlane_b32 s5, v0, s4
	s_lshl_b32 s4, 1, s4
	s_and_not1_b32 s3, s3, s4
	s_add_co_i32 s2, s2, s5
	s_cmp_lg_u32 s3, 0
	s_cbranch_scc1 .LBB7_1
; %bb.2:
	v_mbcnt_lo_u32_b32 v0, exec_lo, 0
	s_mov_b32 s3, exec_lo
	s_delay_alu instid0(VALU_DEP_1)
	v_cmpx_eq_u32_e32 0, v0
	s_xor_b32 s3, exec_lo, s3
; %bb.3:
	v_dual_mov_b32 v0, 0 :: v_dual_mov_b32 v1, s2
	ds_add_u32 v0, v1
; %bb.4:
	s_or_b32 exec_lo, exec_lo, s3
	v_mov_b32_e32 v6, 0
	s_wait_dscnt 0x0
	s_barrier_signal -1
	s_barrier_wait -1
	ds_load_b32 v29, v6
	s_load_b64 s[2:3], s[0:1], 0x50
	v_mbcnt_lo_u32_b32 v34, -1, 0
	v_mov_b64_e32 v[4:5], 0
	s_wait_xcnt 0x0
	s_delay_alu instid0(VALU_DEP_2) | instskip(NEXT) | instid1(VALU_DEP_1)
	v_readfirstlane_b32 s0, v34
	v_cmp_eq_u32_e64 s0, s0, v34
	s_and_saveexec_b32 s1, s0
	s_cbranch_execz .LBB7_10
; %bb.5:
	s_wait_kmcnt 0x0
	global_load_b64 v[2:3], v6, s[2:3] offset:24 scope:SCOPE_SYS
	s_wait_loadcnt 0x0
	global_inv scope:SCOPE_SYS
	s_clause 0x1
	global_load_b64 v[0:1], v6, s[2:3] offset:40
	global_load_b64 v[4:5], v6, s[2:3]
	s_mov_b32 s4, exec_lo
	s_wait_loadcnt 0x1
	v_and_b32_e32 v0, v0, v2
	v_and_b32_e32 v1, v1, v3
	s_delay_alu instid0(VALU_DEP_1) | instskip(SKIP_1) | instid1(VALU_DEP_1)
	v_mul_u64_e32 v[0:1], 24, v[0:1]
	s_wait_loadcnt 0x0
	v_add_nc_u64_e32 v[0:1], v[4:5], v[0:1]
	global_load_b64 v[0:1], v[0:1], off scope:SCOPE_SYS
	s_wait_xcnt 0x0
	s_wait_loadcnt 0x0
	global_atomic_cmpswap_b64 v[4:5], v6, v[0:3], s[2:3] offset:24 th:TH_ATOMIC_RETURN scope:SCOPE_SYS
	s_wait_loadcnt 0x0
	global_inv scope:SCOPE_SYS
	s_wait_xcnt 0x0
	v_cmpx_ne_u64_e64 v[4:5], v[2:3]
	s_cbranch_execz .LBB7_9
; %bb.6:
	v_mov_b32_e32 v0, 0
	s_mov_b32 s5, 0
.LBB7_7:                                ; =>This Inner Loop Header: Depth=1
	s_sleep 1
	s_clause 0x1
	global_load_b64 v[2:3], v0, s[2:3] offset:40
	global_load_b64 v[8:9], v0, s[2:3]
	v_mov_b64_e32 v[10:11], v[4:5]
	s_wait_loadcnt 0x1
	s_delay_alu instid0(VALU_DEP_1) | instskip(SKIP_1) | instid1(VALU_DEP_1)
	v_and_b32_e32 v1, v2, v10
	s_wait_loadcnt 0x0
	v_mad_nc_u64_u32 v[4:5], v1, 24, v[8:9]
	s_delay_alu instid0(VALU_DEP_3) | instskip(NEXT) | instid1(VALU_DEP_1)
	v_and_b32_e32 v1, v3, v11
	v_mad_u32 v5, v1, 24, v5
	global_load_b64 v[8:9], v[4:5], off scope:SCOPE_SYS
	s_wait_xcnt 0x0
	s_wait_loadcnt 0x0
	global_atomic_cmpswap_b64 v[4:5], v0, v[8:11], s[2:3] offset:24 th:TH_ATOMIC_RETURN scope:SCOPE_SYS
	s_wait_loadcnt 0x0
	global_inv scope:SCOPE_SYS
	v_cmp_eq_u64_e32 vcc_lo, v[4:5], v[10:11]
	s_or_b32 s5, vcc_lo, s5
	s_wait_xcnt 0x0
	s_and_not1_b32 exec_lo, exec_lo, s5
	s_cbranch_execnz .LBB7_7
; %bb.8:
	s_or_b32 exec_lo, exec_lo, s5
.LBB7_9:
	s_delay_alu instid0(SALU_CYCLE_1)
	s_or_b32 exec_lo, exec_lo, s4
.LBB7_10:
	s_delay_alu instid0(SALU_CYCLE_1)
	s_or_b32 exec_lo, exec_lo, s1
	s_wait_kmcnt 0x0
	s_clause 0x1
	global_load_b64 v[8:9], v6, s[2:3] offset:40
	global_load_b128 v[0:3], v6, s[2:3]
	v_readfirstlane_b32 s4, v4
	v_readfirstlane_b32 s5, v5
	s_mov_b32 s1, exec_lo
	s_wait_loadcnt 0x1
	s_wait_xcnt 0x0
	v_and_b32_e32 v6, s4, v8
	v_and_b32_e32 v7, s5, v9
	s_delay_alu instid0(VALU_DEP_1) | instskip(SKIP_1) | instid1(VALU_DEP_1)
	v_mul_u64_e32 v[4:5], 24, v[6:7]
	s_wait_loadcnt 0x0
	v_add_nc_u64_e32 v[4:5], v[0:1], v[4:5]
	s_and_saveexec_b32 s6, s0
	s_cbranch_execz .LBB7_12
; %bb.11:
	v_mov_b64_e32 v[10:11], 0x100000002
	v_dual_mov_b32 v8, s1 :: v_dual_mov_b32 v9, 0
	global_store_b128 v[4:5], v[8:11], off offset:8
.LBB7_12:
	s_wait_xcnt 0x0
	s_or_b32 exec_lo, exec_lo, s6
	v_lshlrev_b64_e32 v[6:7], 12, v[6:7]
	s_mov_b32 s8, 0
	v_dual_mov_b32 v27, 0 :: v_dual_lshlrev_b32 v26, 6, v34
	s_mov_b32 s10, s8
	s_mov_b32 s11, s8
	;; [unrolled: 1-line block ×3, first 2 shown]
	s_delay_alu instid0(VALU_DEP_2)
	v_add_nc_u64_e32 v[6:7], v[2:3], v[6:7]
	v_mov_b64_e32 v[14:15], s[10:11]
	v_mov_b64_e32 v[12:13], s[8:9]
	v_dual_mov_b32 v8, 33 :: v_dual_mov_b32 v9, v27
	v_dual_mov_b32 v10, v27 :: v_dual_mov_b32 v11, v27
	v_readfirstlane_b32 s6, v6
	v_readfirstlane_b32 s7, v7
	s_clause 0x3
	global_store_b128 v26, v[8:11], s[6:7]
	global_store_b128 v26, v[12:15], s[6:7] offset:16
	global_store_b128 v26, v[12:15], s[6:7] offset:32
	;; [unrolled: 1-line block ×3, first 2 shown]
	s_wait_xcnt 0x0
	s_and_saveexec_b32 s1, s0
	s_cbranch_execz .LBB7_20
; %bb.13:
	s_clause 0x1
	global_load_b64 v[12:13], v27, s[2:3] offset:32 scope:SCOPE_SYS
	global_load_b64 v[2:3], v27, s[2:3] offset:40
	s_mov_b32 s6, exec_lo
	v_dual_mov_b32 v10, s4 :: v_dual_mov_b32 v11, s5
	s_wait_loadcnt 0x0
	v_and_b32_e32 v3, s5, v3
	v_and_b32_e32 v2, s4, v2
	s_delay_alu instid0(VALU_DEP_1) | instskip(NEXT) | instid1(VALU_DEP_1)
	v_mul_u64_e32 v[2:3], 24, v[2:3]
	v_add_nc_u64_e32 v[8:9], v[0:1], v[2:3]
	global_store_b64 v[8:9], v[12:13], off
	global_wb scope:SCOPE_SYS
	s_wait_storecnt 0x0
	s_wait_xcnt 0x0
	global_atomic_cmpswap_b64 v[2:3], v27, v[10:13], s[2:3] offset:32 th:TH_ATOMIC_RETURN scope:SCOPE_SYS
	s_wait_loadcnt 0x0
	v_cmpx_ne_u64_e64 v[2:3], v[12:13]
	s_cbranch_execz .LBB7_16
; %bb.14:
	v_mov_b32_e32 v10, 0
	s_mov_b32 s7, 0
.LBB7_15:                               ; =>This Inner Loop Header: Depth=1
	v_dual_mov_b32 v0, s4 :: v_dual_mov_b32 v1, s5
	s_sleep 1
	global_store_b64 v[8:9], v[2:3], off
	global_wb scope:SCOPE_SYS
	s_wait_storecnt 0x0
	s_wait_xcnt 0x0
	global_atomic_cmpswap_b64 v[0:1], v10, v[0:3], s[2:3] offset:32 th:TH_ATOMIC_RETURN scope:SCOPE_SYS
	s_wait_loadcnt 0x0
	v_cmp_eq_u64_e32 vcc_lo, v[0:1], v[2:3]
	v_mov_b64_e32 v[2:3], v[0:1]
	s_or_b32 s7, vcc_lo, s7
	s_delay_alu instid0(SALU_CYCLE_1)
	s_and_not1_b32 exec_lo, exec_lo, s7
	s_cbranch_execnz .LBB7_15
.LBB7_16:
	s_or_b32 exec_lo, exec_lo, s6
	v_mov_b32_e32 v3, 0
	s_mov_b32 s7, exec_lo
	s_mov_b32 s6, exec_lo
	v_mbcnt_lo_u32_b32 v2, s7, 0
	global_load_b64 v[0:1], v3, s[2:3] offset:16
	s_wait_xcnt 0x0
	v_cmpx_eq_u32_e32 0, v2
	s_cbranch_execz .LBB7_18
; %bb.17:
	s_bcnt1_i32_b32 s7, s7
	s_delay_alu instid0(SALU_CYCLE_1)
	v_mov_b32_e32 v2, s7
	global_wb scope:SCOPE_SYS
	s_wait_loadcnt 0x0
	s_wait_storecnt 0x0
	global_atomic_add_u64 v[0:1], v[2:3], off offset:8 scope:SCOPE_SYS
.LBB7_18:
	s_wait_xcnt 0x0
	s_or_b32 exec_lo, exec_lo, s6
	s_wait_loadcnt 0x0
	global_load_b64 v[2:3], v[0:1], off offset:16
	s_wait_loadcnt 0x0
	v_cmp_eq_u64_e32 vcc_lo, 0, v[2:3]
	s_cbranch_vccnz .LBB7_20
; %bb.19:
	global_load_b32 v0, v[0:1], off offset:24
	s_wait_xcnt 0x0
	v_mov_b32_e32 v1, 0
	s_wait_loadcnt 0x0
	v_readfirstlane_b32 s6, v0
	global_wb scope:SCOPE_SYS
	s_wait_storecnt 0x0
	global_store_b64 v[2:3], v[0:1], off scope:SCOPE_SYS
	s_and_b32 m0, s6, 0xffffff
	s_sendmsg sendmsg(MSG_INTERRUPT)
.LBB7_20:
	s_wait_xcnt 0x0
	s_or_b32 exec_lo, exec_lo, s1
	v_add_nc_u64_e32 v[0:1], v[6:7], v[26:27]
	s_branch .LBB7_24
.LBB7_21:                               ;   in Loop: Header=BB7_24 Depth=1
	s_wait_xcnt 0x0
	s_or_b32 exec_lo, exec_lo, s1
	s_delay_alu instid0(VALU_DEP_1)
	v_readfirstlane_b32 s1, v2
	s_cmp_eq_u32 s1, 0
	s_cbranch_scc1 .LBB7_23
; %bb.22:                               ;   in Loop: Header=BB7_24 Depth=1
	s_sleep 1
	s_cbranch_execnz .LBB7_24
	s_branch .LBB7_26
.LBB7_23:
	s_branch .LBB7_26
.LBB7_24:                               ; =>This Inner Loop Header: Depth=1
	v_mov_b32_e32 v2, 1
	s_and_saveexec_b32 s1, s0
	s_cbranch_execz .LBB7_21
; %bb.25:                               ;   in Loop: Header=BB7_24 Depth=1
	global_load_b32 v2, v[4:5], off offset:20 scope:SCOPE_SYS
	s_wait_loadcnt 0x0
	global_inv scope:SCOPE_SYS
	v_and_b32_e32 v2, 1, v2
	s_branch .LBB7_21
.LBB7_26:
	global_load_b64 v[4:5], v[0:1], off
	s_wait_xcnt 0x0
	s_and_saveexec_b32 s6, s0
	s_cbranch_execz .LBB7_30
; %bb.27:
	v_mov_b32_e32 v8, 0
	s_clause 0x2
	global_load_b64 v[0:1], v8, s[2:3] offset:40
	global_load_b64 v[12:13], v8, s[2:3] offset:24 scope:SCOPE_SYS
	global_load_b64 v[2:3], v8, s[2:3]
	s_wait_loadcnt 0x2
	v_readfirstlane_b32 s8, v0
	v_readfirstlane_b32 s9, v1
	s_add_nc_u64 s[0:1], s[8:9], 1
	s_delay_alu instid0(SALU_CYCLE_1) | instskip(NEXT) | instid1(SALU_CYCLE_1)
	s_add_nc_u64 s[4:5], s[0:1], s[4:5]
	s_cmp_eq_u64 s[4:5], 0
	s_cselect_b32 s1, s1, s5
	s_cselect_b32 s0, s0, s4
	v_mov_b32_e32 v11, s1
	s_and_b64 s[4:5], s[0:1], s[8:9]
	v_mov_b32_e32 v10, s0
	s_mul_u64 s[4:5], s[4:5], 24
	s_wait_loadcnt 0x0
	v_add_nc_u64_e32 v[6:7], s[4:5], v[2:3]
	global_store_b64 v[6:7], v[12:13], off
	global_wb scope:SCOPE_SYS
	s_wait_storecnt 0x0
	s_wait_xcnt 0x0
	global_atomic_cmpswap_b64 v[2:3], v8, v[10:13], s[2:3] offset:24 th:TH_ATOMIC_RETURN scope:SCOPE_SYS
	s_wait_loadcnt 0x0
	v_cmp_ne_u64_e32 vcc_lo, v[2:3], v[12:13]
	s_and_b32 exec_lo, exec_lo, vcc_lo
	s_cbranch_execz .LBB7_30
; %bb.28:
	s_mov_b32 s4, 0
.LBB7_29:                               ; =>This Inner Loop Header: Depth=1
	v_dual_mov_b32 v0, s0 :: v_dual_mov_b32 v1, s1
	s_sleep 1
	global_store_b64 v[6:7], v[2:3], off
	global_wb scope:SCOPE_SYS
	s_wait_storecnt 0x0
	s_wait_xcnt 0x0
	global_atomic_cmpswap_b64 v[0:1], v8, v[0:3], s[2:3] offset:24 th:TH_ATOMIC_RETURN scope:SCOPE_SYS
	s_wait_loadcnt 0x0
	v_cmp_eq_u64_e32 vcc_lo, v[0:1], v[2:3]
	v_mov_b64_e32 v[2:3], v[0:1]
	s_or_b32 s4, vcc_lo, s4
	s_delay_alu instid0(SALU_CYCLE_1)
	s_and_not1_b32 exec_lo, exec_lo, s4
	s_cbranch_execnz .LBB7_29
.LBB7_30:
	s_or_b32 exec_lo, exec_lo, s6
	s_get_pc_i64 s[4:5]
	s_add_nc_u64 s[4:5], s[4:5], .str.7@rel64+4
	s_delay_alu instid0(SALU_CYCLE_1)
	s_cmp_lg_u64 s[4:5], 0
	s_cbranch_scc0 .LBB7_188
; %bb.31:
	v_mov_b64_e32 v[8:9], 0x100000002
	s_wait_loadcnt 0x0
	v_dual_mov_b32 v7, 0 :: v_dual_bitop2_b32 v28, 2, v4 bitop3:0x40
	v_dual_mov_b32 v1, v5 :: v_dual_bitop2_b32 v0, -3, v4 bitop3:0x40
	s_mov_b64 s[6:7], 6
	s_branch .LBB7_33
.LBB7_32:                               ;   in Loop: Header=BB7_33 Depth=1
	s_or_b32 exec_lo, exec_lo, s12
	s_sub_nc_u64 s[6:7], s[6:7], s[8:9]
	s_add_nc_u64 s[4:5], s[4:5], s[8:9]
	s_cmp_lg_u64 s[6:7], 0
	s_cbranch_scc0 .LBB7_108
.LBB7_33:                               ; =>This Loop Header: Depth=1
                                        ;     Child Loop BB7_36 Depth 2
                                        ;     Child Loop BB7_43 Depth 2
	;; [unrolled: 1-line block ×11, first 2 shown]
	v_min_u64 v[2:3], s[6:7], 56
	v_cmp_gt_u64_e64 s0, s[6:7], 7
	s_and_b32 vcc_lo, exec_lo, s0
	v_readfirstlane_b32 s8, v2
	v_readfirstlane_b32 s9, v3
	s_cbranch_vccnz .LBB7_38
; %bb.34:                               ;   in Loop: Header=BB7_33 Depth=1
	v_mov_b64_e32 v[2:3], 0
	s_cmp_eq_u64 s[6:7], 0
	s_cbranch_scc1 .LBB7_37
; %bb.35:                               ;   in Loop: Header=BB7_33 Depth=1
	s_mov_b64 s[0:1], 0
	s_mov_b64 s[10:11], 0
.LBB7_36:                               ;   Parent Loop BB7_33 Depth=1
                                        ; =>  This Inner Loop Header: Depth=2
	s_wait_xcnt 0x0
	s_add_nc_u64 s[12:13], s[4:5], s[10:11]
	s_add_nc_u64 s[10:11], s[10:11], 1
	global_load_u8 v6, v7, s[12:13]
	s_cmp_lg_u32 s8, s10
	s_wait_loadcnt 0x0
	v_and_b32_e32 v6, 0xffff, v6
	s_delay_alu instid0(VALU_DEP_1) | instskip(SKIP_1) | instid1(VALU_DEP_1)
	v_lshlrev_b64_e32 v[10:11], s0, v[6:7]
	s_add_nc_u64 s[0:1], s[0:1], 8
	v_or_b32_e32 v2, v10, v2
	s_delay_alu instid0(VALU_DEP_2)
	v_or_b32_e32 v3, v11, v3
	s_cbranch_scc1 .LBB7_36
.LBB7_37:                               ;   in Loop: Header=BB7_33 Depth=1
	s_mov_b64 s[10:11], s[4:5]
	s_mov_b32 s14, 0
	s_cbranch_execz .LBB7_39
	s_branch .LBB7_40
.LBB7_38:                               ;   in Loop: Header=BB7_33 Depth=1
	s_add_nc_u64 s[10:11], s[4:5], 8
	s_mov_b32 s14, 0
.LBB7_39:                               ;   in Loop: Header=BB7_33 Depth=1
	global_load_b64 v[2:3], v7, s[4:5]
	s_add_co_i32 s14, s8, -8
.LBB7_40:                               ;   in Loop: Header=BB7_33 Depth=1
	s_delay_alu instid0(SALU_CYCLE_1)
	s_cmp_gt_u32 s14, 7
	s_cbranch_scc1 .LBB7_45
; %bb.41:                               ;   in Loop: Header=BB7_33 Depth=1
	v_mov_b64_e32 v[10:11], 0
	s_cmp_eq_u32 s14, 0
	s_cbranch_scc1 .LBB7_44
; %bb.42:                               ;   in Loop: Header=BB7_33 Depth=1
	s_mov_b64 s[0:1], 0
	s_wait_xcnt 0x0
	s_mov_b64 s[12:13], 0
.LBB7_43:                               ;   Parent Loop BB7_33 Depth=1
                                        ; =>  This Inner Loop Header: Depth=2
	s_wait_xcnt 0x0
	s_add_nc_u64 s[16:17], s[10:11], s[12:13]
	s_add_nc_u64 s[12:13], s[12:13], 1
	global_load_u8 v6, v7, s[16:17]
	s_cmp_lg_u32 s14, s12
	s_wait_loadcnt 0x0
	v_and_b32_e32 v6, 0xffff, v6
	s_delay_alu instid0(VALU_DEP_1) | instskip(SKIP_1) | instid1(VALU_DEP_1)
	v_lshlrev_b64_e32 v[12:13], s0, v[6:7]
	s_add_nc_u64 s[0:1], s[0:1], 8
	v_or_b32_e32 v10, v12, v10
	s_delay_alu instid0(VALU_DEP_2)
	v_or_b32_e32 v11, v13, v11
	s_cbranch_scc1 .LBB7_43
.LBB7_44:                               ;   in Loop: Header=BB7_33 Depth=1
	s_wait_xcnt 0x0
	s_mov_b64 s[0:1], s[10:11]
	s_mov_b32 s15, 0
	s_cbranch_execz .LBB7_46
	s_branch .LBB7_47
.LBB7_45:                               ;   in Loop: Header=BB7_33 Depth=1
	s_add_nc_u64 s[0:1], s[10:11], 8
	s_wait_xcnt 0x0
                                        ; implicit-def: $vgpr10_vgpr11
	s_mov_b32 s15, 0
.LBB7_46:                               ;   in Loop: Header=BB7_33 Depth=1
	global_load_b64 v[10:11], v7, s[10:11]
	s_add_co_i32 s15, s14, -8
.LBB7_47:                               ;   in Loop: Header=BB7_33 Depth=1
	s_delay_alu instid0(SALU_CYCLE_1)
	s_cmp_gt_u32 s15, 7
	s_cbranch_scc1 .LBB7_52
; %bb.48:                               ;   in Loop: Header=BB7_33 Depth=1
	v_mov_b64_e32 v[12:13], 0
	s_cmp_eq_u32 s15, 0
	s_cbranch_scc1 .LBB7_51
; %bb.49:                               ;   in Loop: Header=BB7_33 Depth=1
	s_wait_xcnt 0x0
	s_mov_b64 s[10:11], 0
	s_mov_b64 s[12:13], 0
.LBB7_50:                               ;   Parent Loop BB7_33 Depth=1
                                        ; =>  This Inner Loop Header: Depth=2
	s_wait_xcnt 0x0
	s_add_nc_u64 s[16:17], s[0:1], s[12:13]
	s_add_nc_u64 s[12:13], s[12:13], 1
	global_load_u8 v6, v7, s[16:17]
	s_cmp_lg_u32 s15, s12
	s_wait_loadcnt 0x0
	v_and_b32_e32 v6, 0xffff, v6
	s_delay_alu instid0(VALU_DEP_1) | instskip(SKIP_1) | instid1(VALU_DEP_1)
	v_lshlrev_b64_e32 v[14:15], s10, v[6:7]
	s_add_nc_u64 s[10:11], s[10:11], 8
	v_or_b32_e32 v12, v14, v12
	s_delay_alu instid0(VALU_DEP_2)
	v_or_b32_e32 v13, v15, v13
	s_cbranch_scc1 .LBB7_50
.LBB7_51:                               ;   in Loop: Header=BB7_33 Depth=1
	s_wait_xcnt 0x0
	s_mov_b64 s[10:11], s[0:1]
	s_mov_b32 s14, 0
	s_cbranch_execz .LBB7_53
	s_branch .LBB7_54
.LBB7_52:                               ;   in Loop: Header=BB7_33 Depth=1
	s_wait_xcnt 0x0
	s_add_nc_u64 s[10:11], s[0:1], 8
	s_mov_b32 s14, 0
.LBB7_53:                               ;   in Loop: Header=BB7_33 Depth=1
	global_load_b64 v[12:13], v7, s[0:1]
	s_add_co_i32 s14, s15, -8
.LBB7_54:                               ;   in Loop: Header=BB7_33 Depth=1
	s_delay_alu instid0(SALU_CYCLE_1)
	s_cmp_gt_u32 s14, 7
	s_cbranch_scc1 .LBB7_59
; %bb.55:                               ;   in Loop: Header=BB7_33 Depth=1
	v_mov_b64_e32 v[14:15], 0
	s_cmp_eq_u32 s14, 0
	s_cbranch_scc1 .LBB7_58
; %bb.56:                               ;   in Loop: Header=BB7_33 Depth=1
	s_wait_xcnt 0x0
	s_mov_b64 s[0:1], 0
	s_mov_b64 s[12:13], 0
.LBB7_57:                               ;   Parent Loop BB7_33 Depth=1
                                        ; =>  This Inner Loop Header: Depth=2
	s_wait_xcnt 0x0
	s_add_nc_u64 s[16:17], s[10:11], s[12:13]
	s_add_nc_u64 s[12:13], s[12:13], 1
	global_load_u8 v6, v7, s[16:17]
	s_cmp_lg_u32 s14, s12
	s_wait_loadcnt 0x0
	v_and_b32_e32 v6, 0xffff, v6
	s_delay_alu instid0(VALU_DEP_1) | instskip(SKIP_1) | instid1(VALU_DEP_1)
	v_lshlrev_b64_e32 v[16:17], s0, v[6:7]
	s_add_nc_u64 s[0:1], s[0:1], 8
	v_or_b32_e32 v14, v16, v14
	s_delay_alu instid0(VALU_DEP_2)
	v_or_b32_e32 v15, v17, v15
	s_cbranch_scc1 .LBB7_57
.LBB7_58:                               ;   in Loop: Header=BB7_33 Depth=1
	s_wait_xcnt 0x0
	s_mov_b64 s[0:1], s[10:11]
	s_mov_b32 s15, 0
	s_cbranch_execz .LBB7_60
	s_branch .LBB7_61
.LBB7_59:                               ;   in Loop: Header=BB7_33 Depth=1
	s_wait_xcnt 0x0
	s_add_nc_u64 s[0:1], s[10:11], 8
                                        ; implicit-def: $vgpr14_vgpr15
	s_mov_b32 s15, 0
.LBB7_60:                               ;   in Loop: Header=BB7_33 Depth=1
	global_load_b64 v[14:15], v7, s[10:11]
	s_add_co_i32 s15, s14, -8
.LBB7_61:                               ;   in Loop: Header=BB7_33 Depth=1
	s_delay_alu instid0(SALU_CYCLE_1)
	s_cmp_gt_u32 s15, 7
	s_cbranch_scc1 .LBB7_66
; %bb.62:                               ;   in Loop: Header=BB7_33 Depth=1
	v_mov_b64_e32 v[16:17], 0
	s_cmp_eq_u32 s15, 0
	s_cbranch_scc1 .LBB7_65
; %bb.63:                               ;   in Loop: Header=BB7_33 Depth=1
	s_wait_xcnt 0x0
	s_mov_b64 s[10:11], 0
	s_mov_b64 s[12:13], 0
.LBB7_64:                               ;   Parent Loop BB7_33 Depth=1
                                        ; =>  This Inner Loop Header: Depth=2
	s_wait_xcnt 0x0
	s_add_nc_u64 s[16:17], s[0:1], s[12:13]
	s_add_nc_u64 s[12:13], s[12:13], 1
	global_load_u8 v6, v7, s[16:17]
	s_cmp_lg_u32 s15, s12
	s_wait_loadcnt 0x0
	v_and_b32_e32 v6, 0xffff, v6
	s_delay_alu instid0(VALU_DEP_1) | instskip(SKIP_1) | instid1(VALU_DEP_1)
	v_lshlrev_b64_e32 v[18:19], s10, v[6:7]
	s_add_nc_u64 s[10:11], s[10:11], 8
	v_or_b32_e32 v16, v18, v16
	s_delay_alu instid0(VALU_DEP_2)
	v_or_b32_e32 v17, v19, v17
	s_cbranch_scc1 .LBB7_64
.LBB7_65:                               ;   in Loop: Header=BB7_33 Depth=1
	s_wait_xcnt 0x0
	s_mov_b64 s[10:11], s[0:1]
	s_mov_b32 s14, 0
	s_cbranch_execz .LBB7_67
	s_branch .LBB7_68
.LBB7_66:                               ;   in Loop: Header=BB7_33 Depth=1
	s_wait_xcnt 0x0
	s_add_nc_u64 s[10:11], s[0:1], 8
	s_mov_b32 s14, 0
.LBB7_67:                               ;   in Loop: Header=BB7_33 Depth=1
	global_load_b64 v[16:17], v7, s[0:1]
	s_add_co_i32 s14, s15, -8
.LBB7_68:                               ;   in Loop: Header=BB7_33 Depth=1
	s_delay_alu instid0(SALU_CYCLE_1)
	s_cmp_gt_u32 s14, 7
	s_cbranch_scc1 .LBB7_73
; %bb.69:                               ;   in Loop: Header=BB7_33 Depth=1
	v_mov_b64_e32 v[18:19], 0
	s_cmp_eq_u32 s14, 0
	s_cbranch_scc1 .LBB7_72
; %bb.70:                               ;   in Loop: Header=BB7_33 Depth=1
	s_wait_xcnt 0x0
	s_mov_b64 s[0:1], 0
	s_mov_b64 s[12:13], 0
.LBB7_71:                               ;   Parent Loop BB7_33 Depth=1
                                        ; =>  This Inner Loop Header: Depth=2
	s_wait_xcnt 0x0
	s_add_nc_u64 s[16:17], s[10:11], s[12:13]
	s_add_nc_u64 s[12:13], s[12:13], 1
	global_load_u8 v6, v7, s[16:17]
	s_cmp_lg_u32 s14, s12
	s_wait_loadcnt 0x0
	v_and_b32_e32 v6, 0xffff, v6
	s_delay_alu instid0(VALU_DEP_1) | instskip(SKIP_1) | instid1(VALU_DEP_1)
	v_lshlrev_b64_e32 v[20:21], s0, v[6:7]
	s_add_nc_u64 s[0:1], s[0:1], 8
	v_or_b32_e32 v18, v20, v18
	s_delay_alu instid0(VALU_DEP_2)
	v_or_b32_e32 v19, v21, v19
	s_cbranch_scc1 .LBB7_71
.LBB7_72:                               ;   in Loop: Header=BB7_33 Depth=1
	s_wait_xcnt 0x0
	s_mov_b64 s[0:1], s[10:11]
	s_mov_b32 s15, 0
	s_cbranch_execz .LBB7_74
	s_branch .LBB7_75
.LBB7_73:                               ;   in Loop: Header=BB7_33 Depth=1
	s_wait_xcnt 0x0
	s_add_nc_u64 s[0:1], s[10:11], 8
                                        ; implicit-def: $vgpr18_vgpr19
	s_mov_b32 s15, 0
.LBB7_74:                               ;   in Loop: Header=BB7_33 Depth=1
	global_load_b64 v[18:19], v7, s[10:11]
	s_add_co_i32 s15, s14, -8
.LBB7_75:                               ;   in Loop: Header=BB7_33 Depth=1
	s_delay_alu instid0(SALU_CYCLE_1)
	s_cmp_gt_u32 s15, 7
	s_cbranch_scc1 .LBB7_80
; %bb.76:                               ;   in Loop: Header=BB7_33 Depth=1
	v_mov_b64_e32 v[20:21], 0
	s_cmp_eq_u32 s15, 0
	s_cbranch_scc1 .LBB7_79
; %bb.77:                               ;   in Loop: Header=BB7_33 Depth=1
	s_wait_xcnt 0x0
	s_mov_b64 s[10:11], 0
	s_mov_b64 s[12:13], s[0:1]
.LBB7_78:                               ;   Parent Loop BB7_33 Depth=1
                                        ; =>  This Inner Loop Header: Depth=2
	global_load_u8 v6, v7, s[12:13]
	s_add_co_i32 s15, s15, -1
	s_wait_xcnt 0x0
	s_add_nc_u64 s[12:13], s[12:13], 1
	s_cmp_lg_u32 s15, 0
	s_wait_loadcnt 0x0
	v_and_b32_e32 v6, 0xffff, v6
	s_delay_alu instid0(VALU_DEP_1) | instskip(SKIP_1) | instid1(VALU_DEP_1)
	v_lshlrev_b64_e32 v[22:23], s10, v[6:7]
	s_add_nc_u64 s[10:11], s[10:11], 8
	v_or_b32_e32 v20, v22, v20
	s_delay_alu instid0(VALU_DEP_2)
	v_or_b32_e32 v21, v23, v21
	s_cbranch_scc1 .LBB7_78
.LBB7_79:                               ;   in Loop: Header=BB7_33 Depth=1
	s_wait_xcnt 0x0
	s_cbranch_execz .LBB7_81
	s_branch .LBB7_82
.LBB7_80:                               ;   in Loop: Header=BB7_33 Depth=1
	s_wait_xcnt 0x0
.LBB7_81:                               ;   in Loop: Header=BB7_33 Depth=1
	global_load_b64 v[20:21], v7, s[0:1]
.LBB7_82:                               ;   in Loop: Header=BB7_33 Depth=1
	s_wait_xcnt 0x0
	v_readfirstlane_b32 s0, v34
	v_mov_b64_e32 v[30:31], 0
	s_delay_alu instid0(VALU_DEP_2)
	v_cmp_eq_u32_e64 s0, s0, v34
	s_and_saveexec_b32 s1, s0
	s_cbranch_execz .LBB7_88
; %bb.83:                               ;   in Loop: Header=BB7_33 Depth=1
	global_load_b64 v[24:25], v7, s[2:3] offset:24 scope:SCOPE_SYS
	s_wait_loadcnt 0x0
	global_inv scope:SCOPE_SYS
	s_clause 0x1
	global_load_b64 v[22:23], v7, s[2:3] offset:40
	global_load_b64 v[30:31], v7, s[2:3]
	s_mov_b32 s10, exec_lo
	s_wait_loadcnt 0x1
	v_and_b32_e32 v22, v22, v24
	v_and_b32_e32 v23, v23, v25
	s_delay_alu instid0(VALU_DEP_1) | instskip(SKIP_1) | instid1(VALU_DEP_1)
	v_mul_u64_e32 v[22:23], 24, v[22:23]
	s_wait_loadcnt 0x0
	v_add_nc_u64_e32 v[22:23], v[30:31], v[22:23]
	global_load_b64 v[22:23], v[22:23], off scope:SCOPE_SYS
	s_wait_xcnt 0x0
	s_wait_loadcnt 0x0
	global_atomic_cmpswap_b64 v[30:31], v7, v[22:25], s[2:3] offset:24 th:TH_ATOMIC_RETURN scope:SCOPE_SYS
	s_wait_loadcnt 0x0
	global_inv scope:SCOPE_SYS
	s_wait_xcnt 0x0
	v_cmpx_ne_u64_e64 v[30:31], v[24:25]
	s_cbranch_execz .LBB7_87
; %bb.84:                               ;   in Loop: Header=BB7_33 Depth=1
	s_mov_b32 s11, 0
.LBB7_85:                               ;   Parent Loop BB7_33 Depth=1
                                        ; =>  This Inner Loop Header: Depth=2
	s_sleep 1
	s_clause 0x1
	global_load_b64 v[22:23], v7, s[2:3] offset:40
	global_load_b64 v[32:33], v7, s[2:3]
	v_mov_b64_e32 v[24:25], v[30:31]
	s_wait_loadcnt 0x1
	s_delay_alu instid0(VALU_DEP_1) | instskip(SKIP_1) | instid1(VALU_DEP_1)
	v_and_b32_e32 v6, v22, v24
	s_wait_loadcnt 0x0
	v_mad_nc_u64_u32 v[30:31], v6, 24, v[32:33]
	s_delay_alu instid0(VALU_DEP_3) | instskip(NEXT) | instid1(VALU_DEP_1)
	v_and_b32_e32 v6, v23, v25
	v_mad_u32 v31, v6, 24, v31
	global_load_b64 v[22:23], v[30:31], off scope:SCOPE_SYS
	s_wait_xcnt 0x0
	s_wait_loadcnt 0x0
	global_atomic_cmpswap_b64 v[30:31], v7, v[22:25], s[2:3] offset:24 th:TH_ATOMIC_RETURN scope:SCOPE_SYS
	s_wait_loadcnt 0x0
	global_inv scope:SCOPE_SYS
	v_cmp_eq_u64_e32 vcc_lo, v[30:31], v[24:25]
	s_or_b32 s11, vcc_lo, s11
	s_wait_xcnt 0x0
	s_and_not1_b32 exec_lo, exec_lo, s11
	s_cbranch_execnz .LBB7_85
; %bb.86:                               ;   in Loop: Header=BB7_33 Depth=1
	s_or_b32 exec_lo, exec_lo, s11
.LBB7_87:                               ;   in Loop: Header=BB7_33 Depth=1
	s_delay_alu instid0(SALU_CYCLE_1)
	s_or_b32 exec_lo, exec_lo, s10
.LBB7_88:                               ;   in Loop: Header=BB7_33 Depth=1
	s_delay_alu instid0(SALU_CYCLE_1)
	s_or_b32 exec_lo, exec_lo, s1
	s_clause 0x1
	global_load_b64 v[32:33], v7, s[2:3] offset:40
	global_load_b128 v[22:25], v7, s[2:3]
	v_readfirstlane_b32 s10, v30
	v_readfirstlane_b32 s11, v31
	s_mov_b32 s1, exec_lo
	s_wait_loadcnt 0x1
	v_and_b32_e32 v32, s10, v32
	v_and_b32_e32 v33, s11, v33
	s_delay_alu instid0(VALU_DEP_1) | instskip(SKIP_1) | instid1(VALU_DEP_1)
	v_mul_u64_e32 v[30:31], 24, v[32:33]
	s_wait_loadcnt 0x0
	v_add_nc_u64_e32 v[30:31], v[22:23], v[30:31]
	s_wait_xcnt 0x0
	s_and_saveexec_b32 s12, s0
	s_cbranch_execz .LBB7_90
; %bb.89:                               ;   in Loop: Header=BB7_33 Depth=1
	v_mov_b32_e32 v6, s1
	global_store_b128 v[30:31], v[6:9], off offset:8
.LBB7_90:                               ;   in Loop: Header=BB7_33 Depth=1
	s_wait_xcnt 0x0
	s_or_b32 exec_lo, exec_lo, s12
	v_cmp_lt_u64_e64 vcc_lo, s[6:7], 57
	v_lshlrev_b64_e32 v[32:33], 12, v[32:33]
	v_and_b32_e32 v0, 0xffffff1f, v0
	s_lshl_b32 s1, s8, 2
	s_delay_alu instid0(SALU_CYCLE_1) | instskip(SKIP_1) | instid1(VALU_DEP_3)
	s_add_co_i32 s1, s1, 28
	v_cndmask_b32_e32 v6, 0, v28, vcc_lo
	v_add_nc_u64_e32 v[24:25], v[24:25], v[32:33]
	s_delay_alu instid0(VALU_DEP_2) | instskip(NEXT) | instid1(VALU_DEP_2)
	v_or_b32_e32 v0, v0, v6
	v_readfirstlane_b32 s12, v24
	s_delay_alu instid0(VALU_DEP_3) | instskip(NEXT) | instid1(VALU_DEP_3)
	v_readfirstlane_b32 s13, v25
	v_and_or_b32 v0, 0x1e0, s1, v0
	s_clause 0x3
	global_store_b128 v26, v[0:3], s[12:13]
	global_store_b128 v26, v[10:13], s[12:13] offset:16
	global_store_b128 v26, v[14:17], s[12:13] offset:32
	;; [unrolled: 1-line block ×3, first 2 shown]
	s_wait_xcnt 0x0
	s_and_saveexec_b32 s1, s0
	s_cbranch_execz .LBB7_98
; %bb.91:                               ;   in Loop: Header=BB7_33 Depth=1
	s_clause 0x1
	global_load_b64 v[14:15], v7, s[2:3] offset:32 scope:SCOPE_SYS
	global_load_b64 v[0:1], v7, s[2:3] offset:40
	s_mov_b32 s12, exec_lo
	v_dual_mov_b32 v12, s10 :: v_dual_mov_b32 v13, s11
	s_wait_loadcnt 0x0
	v_and_b32_e32 v1, s11, v1
	v_and_b32_e32 v0, s10, v0
	s_delay_alu instid0(VALU_DEP_1) | instskip(NEXT) | instid1(VALU_DEP_1)
	v_mul_u64_e32 v[0:1], 24, v[0:1]
	v_add_nc_u64_e32 v[10:11], v[22:23], v[0:1]
	global_store_b64 v[10:11], v[14:15], off
	global_wb scope:SCOPE_SYS
	s_wait_storecnt 0x0
	s_wait_xcnt 0x0
	global_atomic_cmpswap_b64 v[2:3], v7, v[12:15], s[2:3] offset:32 th:TH_ATOMIC_RETURN scope:SCOPE_SYS
	s_wait_loadcnt 0x0
	v_cmpx_ne_u64_e64 v[2:3], v[14:15]
	s_cbranch_execz .LBB7_94
; %bb.92:                               ;   in Loop: Header=BB7_33 Depth=1
	s_mov_b32 s13, 0
.LBB7_93:                               ;   Parent Loop BB7_33 Depth=1
                                        ; =>  This Inner Loop Header: Depth=2
	v_dual_mov_b32 v0, s10 :: v_dual_mov_b32 v1, s11
	s_sleep 1
	global_store_b64 v[10:11], v[2:3], off
	global_wb scope:SCOPE_SYS
	s_wait_storecnt 0x0
	s_wait_xcnt 0x0
	global_atomic_cmpswap_b64 v[0:1], v7, v[0:3], s[2:3] offset:32 th:TH_ATOMIC_RETURN scope:SCOPE_SYS
	s_wait_loadcnt 0x0
	v_cmp_eq_u64_e32 vcc_lo, v[0:1], v[2:3]
	v_mov_b64_e32 v[2:3], v[0:1]
	s_or_b32 s13, vcc_lo, s13
	s_delay_alu instid0(SALU_CYCLE_1)
	s_and_not1_b32 exec_lo, exec_lo, s13
	s_cbranch_execnz .LBB7_93
.LBB7_94:                               ;   in Loop: Header=BB7_33 Depth=1
	s_or_b32 exec_lo, exec_lo, s12
	global_load_b64 v[0:1], v7, s[2:3] offset:16
	s_mov_b32 s13, exec_lo
	s_mov_b32 s12, exec_lo
	v_mbcnt_lo_u32_b32 v2, s13, 0
	s_wait_xcnt 0x0
	s_delay_alu instid0(VALU_DEP_1)
	v_cmpx_eq_u32_e32 0, v2
	s_cbranch_execz .LBB7_96
; %bb.95:                               ;   in Loop: Header=BB7_33 Depth=1
	s_bcnt1_i32_b32 s13, s13
	s_delay_alu instid0(SALU_CYCLE_1)
	v_mov_b32_e32 v6, s13
	global_wb scope:SCOPE_SYS
	s_wait_loadcnt 0x0
	s_wait_storecnt 0x0
	global_atomic_add_u64 v[0:1], v[6:7], off offset:8 scope:SCOPE_SYS
.LBB7_96:                               ;   in Loop: Header=BB7_33 Depth=1
	s_wait_xcnt 0x0
	s_or_b32 exec_lo, exec_lo, s12
	s_wait_loadcnt 0x0
	global_load_b64 v[2:3], v[0:1], off offset:16
	s_wait_loadcnt 0x0
	v_cmp_eq_u64_e32 vcc_lo, 0, v[2:3]
	s_cbranch_vccnz .LBB7_98
; %bb.97:                               ;   in Loop: Header=BB7_33 Depth=1
	global_load_b32 v6, v[0:1], off offset:24
	s_wait_loadcnt 0x0
	v_readfirstlane_b32 s12, v6
	global_wb scope:SCOPE_SYS
	s_wait_storecnt 0x0
	s_wait_xcnt 0x0
	global_store_b64 v[2:3], v[6:7], off scope:SCOPE_SYS
	s_and_b32 m0, s12, 0xffffff
	s_sendmsg sendmsg(MSG_INTERRUPT)
.LBB7_98:                               ;   in Loop: Header=BB7_33 Depth=1
	s_wait_xcnt 0x0
	s_or_b32 exec_lo, exec_lo, s1
	v_mov_b32_e32 v27, v7
	s_delay_alu instid0(VALU_DEP_1)
	v_add_nc_u64_e32 v[0:1], v[24:25], v[26:27]
	s_branch .LBB7_102
.LBB7_99:                               ;   in Loop: Header=BB7_102 Depth=2
	s_wait_xcnt 0x0
	s_or_b32 exec_lo, exec_lo, s1
	s_delay_alu instid0(VALU_DEP_1)
	v_readfirstlane_b32 s1, v2
	s_cmp_eq_u32 s1, 0
	s_cbranch_scc1 .LBB7_101
; %bb.100:                              ;   in Loop: Header=BB7_102 Depth=2
	s_sleep 1
	s_cbranch_execnz .LBB7_102
	s_branch .LBB7_104
.LBB7_101:                              ;   in Loop: Header=BB7_33 Depth=1
	s_branch .LBB7_104
.LBB7_102:                              ;   Parent Loop BB7_33 Depth=1
                                        ; =>  This Inner Loop Header: Depth=2
	v_mov_b32_e32 v2, 1
	s_and_saveexec_b32 s1, s0
	s_cbranch_execz .LBB7_99
; %bb.103:                              ;   in Loop: Header=BB7_102 Depth=2
	global_load_b32 v2, v[30:31], off offset:20 scope:SCOPE_SYS
	s_wait_loadcnt 0x0
	global_inv scope:SCOPE_SYS
	v_and_b32_e32 v2, 1, v2
	s_branch .LBB7_99
.LBB7_104:                              ;   in Loop: Header=BB7_33 Depth=1
	global_load_b64 v[0:1], v[0:1], off
	s_wait_xcnt 0x0
	s_and_saveexec_b32 s12, s0
	s_cbranch_execz .LBB7_32
; %bb.105:                              ;   in Loop: Header=BB7_33 Depth=1
	s_clause 0x2
	global_load_b64 v[2:3], v7, s[2:3] offset:40
	global_load_b64 v[14:15], v7, s[2:3] offset:24 scope:SCOPE_SYS
	global_load_b64 v[10:11], v7, s[2:3]
	s_wait_loadcnt 0x2
	v_readfirstlane_b32 s14, v2
	v_readfirstlane_b32 s15, v3
	s_add_nc_u64 s[0:1], s[14:15], 1
	s_delay_alu instid0(SALU_CYCLE_1) | instskip(NEXT) | instid1(SALU_CYCLE_1)
	s_add_nc_u64 s[10:11], s[0:1], s[10:11]
	s_cmp_eq_u64 s[10:11], 0
	s_cselect_b32 s1, s1, s11
	s_cselect_b32 s0, s0, s10
	s_delay_alu instid0(SALU_CYCLE_1) | instskip(SKIP_1) | instid1(SALU_CYCLE_1)
	v_dual_mov_b32 v13, s1 :: v_dual_mov_b32 v12, s0
	s_and_b64 s[10:11], s[0:1], s[14:15]
	s_mul_u64 s[10:11], s[10:11], 24
	s_wait_loadcnt 0x0
	v_add_nc_u64_e32 v[2:3], s[10:11], v[10:11]
	global_store_b64 v[2:3], v[14:15], off
	global_wb scope:SCOPE_SYS
	s_wait_storecnt 0x0
	s_wait_xcnt 0x0
	global_atomic_cmpswap_b64 v[12:13], v7, v[12:15], s[2:3] offset:24 th:TH_ATOMIC_RETURN scope:SCOPE_SYS
	s_wait_loadcnt 0x0
	v_cmp_ne_u64_e32 vcc_lo, v[12:13], v[14:15]
	s_and_b32 exec_lo, exec_lo, vcc_lo
	s_cbranch_execz .LBB7_32
; %bb.106:                              ;   in Loop: Header=BB7_33 Depth=1
	s_mov_b32 s10, 0
.LBB7_107:                              ;   Parent Loop BB7_33 Depth=1
                                        ; =>  This Inner Loop Header: Depth=2
	v_dual_mov_b32 v10, s0 :: v_dual_mov_b32 v11, s1
	s_sleep 1
	global_store_b64 v[2:3], v[12:13], off
	global_wb scope:SCOPE_SYS
	s_wait_storecnt 0x0
	s_wait_xcnt 0x0
	global_atomic_cmpswap_b64 v[10:11], v7, v[10:13], s[2:3] offset:24 th:TH_ATOMIC_RETURN scope:SCOPE_SYS
	s_wait_loadcnt 0x0
	v_cmp_eq_u64_e32 vcc_lo, v[10:11], v[12:13]
	v_mov_b64_e32 v[12:13], v[10:11]
	s_or_b32 s10, vcc_lo, s10
	s_delay_alu instid0(SALU_CYCLE_1)
	s_and_not1_b32 exec_lo, exec_lo, s10
	s_cbranch_execnz .LBB7_107
	s_branch .LBB7_32
.LBB7_108:
.LBB7_109:
	s_get_pc_i64 s[4:5]
	s_add_nc_u64 s[4:5], s[4:5], .str.10@rel64+4
	s_delay_alu instid0(SALU_CYCLE_1)
	s_cmp_lg_u64 s[4:5], 0
	s_cbranch_scc0 .LBB7_216
.LBB7_110:
	v_mov_b64_e32 v[8:9], 0x100000002
	s_wait_loadcnt 0x0
	v_dual_mov_b32 v7, 0 :: v_dual_bitop2_b32 v28, 2, v0 bitop3:0x40
	v_dual_mov_b32 v3, v1 :: v_dual_bitop2_b32 v2, -3, v0 bitop3:0x40
	s_mov_b64 s[6:7], 52
	s_branch .LBB7_112
.LBB7_111:                              ;   in Loop: Header=BB7_112 Depth=1
	s_or_b32 exec_lo, exec_lo, s12
	s_sub_nc_u64 s[6:7], s[6:7], s[8:9]
	s_add_nc_u64 s[4:5], s[4:5], s[8:9]
	s_cmp_lg_u64 s[6:7], 0
	s_cbranch_scc0 .LBB7_187
.LBB7_112:                              ; =>This Loop Header: Depth=1
                                        ;     Child Loop BB7_115 Depth 2
                                        ;     Child Loop BB7_122 Depth 2
	;; [unrolled: 1-line block ×11, first 2 shown]
	v_min_u64 v[4:5], s[6:7], 56
	v_cmp_gt_u64_e64 s0, s[6:7], 7
	s_and_b32 vcc_lo, exec_lo, s0
	v_readfirstlane_b32 s8, v4
	v_readfirstlane_b32 s9, v5
	s_cbranch_vccnz .LBB7_117
; %bb.113:                              ;   in Loop: Header=BB7_112 Depth=1
	v_mov_b64_e32 v[4:5], 0
	s_cmp_eq_u64 s[6:7], 0
	s_cbranch_scc1 .LBB7_116
; %bb.114:                              ;   in Loop: Header=BB7_112 Depth=1
	s_mov_b64 s[0:1], 0
	s_mov_b64 s[10:11], 0
.LBB7_115:                              ;   Parent Loop BB7_112 Depth=1
                                        ; =>  This Inner Loop Header: Depth=2
	s_wait_xcnt 0x0
	s_add_nc_u64 s[12:13], s[4:5], s[10:11]
	s_add_nc_u64 s[10:11], s[10:11], 1
	global_load_u8 v6, v7, s[12:13]
	s_cmp_lg_u32 s8, s10
	s_wait_loadcnt 0x0
	v_and_b32_e32 v6, 0xffff, v6
	s_delay_alu instid0(VALU_DEP_1) | instskip(SKIP_1) | instid1(VALU_DEP_1)
	v_lshlrev_b64_e32 v[10:11], s0, v[6:7]
	s_add_nc_u64 s[0:1], s[0:1], 8
	v_or_b32_e32 v4, v10, v4
	s_delay_alu instid0(VALU_DEP_2)
	v_or_b32_e32 v5, v11, v5
	s_cbranch_scc1 .LBB7_115
.LBB7_116:                              ;   in Loop: Header=BB7_112 Depth=1
	s_mov_b64 s[10:11], s[4:5]
	s_mov_b32 s14, 0
	s_cbranch_execz .LBB7_118
	s_branch .LBB7_119
.LBB7_117:                              ;   in Loop: Header=BB7_112 Depth=1
	s_add_nc_u64 s[10:11], s[4:5], 8
	s_mov_b32 s14, 0
.LBB7_118:                              ;   in Loop: Header=BB7_112 Depth=1
	global_load_b64 v[4:5], v7, s[4:5]
	s_add_co_i32 s14, s8, -8
.LBB7_119:                              ;   in Loop: Header=BB7_112 Depth=1
	s_delay_alu instid0(SALU_CYCLE_1)
	s_cmp_gt_u32 s14, 7
	s_cbranch_scc1 .LBB7_124
; %bb.120:                              ;   in Loop: Header=BB7_112 Depth=1
	v_mov_b64_e32 v[10:11], 0
	s_cmp_eq_u32 s14, 0
	s_cbranch_scc1 .LBB7_123
; %bb.121:                              ;   in Loop: Header=BB7_112 Depth=1
	s_mov_b64 s[0:1], 0
	s_wait_xcnt 0x0
	s_mov_b64 s[12:13], 0
.LBB7_122:                              ;   Parent Loop BB7_112 Depth=1
                                        ; =>  This Inner Loop Header: Depth=2
	s_wait_xcnt 0x0
	s_add_nc_u64 s[16:17], s[10:11], s[12:13]
	s_add_nc_u64 s[12:13], s[12:13], 1
	global_load_u8 v6, v7, s[16:17]
	s_cmp_lg_u32 s14, s12
	s_wait_loadcnt 0x0
	v_and_b32_e32 v6, 0xffff, v6
	s_delay_alu instid0(VALU_DEP_1) | instskip(SKIP_1) | instid1(VALU_DEP_1)
	v_lshlrev_b64_e32 v[12:13], s0, v[6:7]
	s_add_nc_u64 s[0:1], s[0:1], 8
	v_or_b32_e32 v10, v12, v10
	s_delay_alu instid0(VALU_DEP_2)
	v_or_b32_e32 v11, v13, v11
	s_cbranch_scc1 .LBB7_122
.LBB7_123:                              ;   in Loop: Header=BB7_112 Depth=1
	s_wait_xcnt 0x0
	s_mov_b64 s[0:1], s[10:11]
	s_mov_b32 s15, 0
	s_cbranch_execz .LBB7_125
	s_branch .LBB7_126
.LBB7_124:                              ;   in Loop: Header=BB7_112 Depth=1
	s_add_nc_u64 s[0:1], s[10:11], 8
	s_wait_xcnt 0x0
                                        ; implicit-def: $vgpr10_vgpr11
	s_mov_b32 s15, 0
.LBB7_125:                              ;   in Loop: Header=BB7_112 Depth=1
	global_load_b64 v[10:11], v7, s[10:11]
	s_add_co_i32 s15, s14, -8
.LBB7_126:                              ;   in Loop: Header=BB7_112 Depth=1
	s_delay_alu instid0(SALU_CYCLE_1)
	s_cmp_gt_u32 s15, 7
	s_cbranch_scc1 .LBB7_131
; %bb.127:                              ;   in Loop: Header=BB7_112 Depth=1
	v_mov_b64_e32 v[12:13], 0
	s_cmp_eq_u32 s15, 0
	s_cbranch_scc1 .LBB7_130
; %bb.128:                              ;   in Loop: Header=BB7_112 Depth=1
	s_wait_xcnt 0x0
	s_mov_b64 s[10:11], 0
	s_mov_b64 s[12:13], 0
.LBB7_129:                              ;   Parent Loop BB7_112 Depth=1
                                        ; =>  This Inner Loop Header: Depth=2
	s_wait_xcnt 0x0
	s_add_nc_u64 s[16:17], s[0:1], s[12:13]
	s_add_nc_u64 s[12:13], s[12:13], 1
	global_load_u8 v6, v7, s[16:17]
	s_cmp_lg_u32 s15, s12
	s_wait_loadcnt 0x0
	v_and_b32_e32 v6, 0xffff, v6
	s_delay_alu instid0(VALU_DEP_1) | instskip(SKIP_1) | instid1(VALU_DEP_1)
	v_lshlrev_b64_e32 v[14:15], s10, v[6:7]
	s_add_nc_u64 s[10:11], s[10:11], 8
	v_or_b32_e32 v12, v14, v12
	s_delay_alu instid0(VALU_DEP_2)
	v_or_b32_e32 v13, v15, v13
	s_cbranch_scc1 .LBB7_129
.LBB7_130:                              ;   in Loop: Header=BB7_112 Depth=1
	s_wait_xcnt 0x0
	s_mov_b64 s[10:11], s[0:1]
	s_mov_b32 s14, 0
	s_cbranch_execz .LBB7_132
	s_branch .LBB7_133
.LBB7_131:                              ;   in Loop: Header=BB7_112 Depth=1
	s_wait_xcnt 0x0
	s_add_nc_u64 s[10:11], s[0:1], 8
	s_mov_b32 s14, 0
.LBB7_132:                              ;   in Loop: Header=BB7_112 Depth=1
	global_load_b64 v[12:13], v7, s[0:1]
	s_add_co_i32 s14, s15, -8
.LBB7_133:                              ;   in Loop: Header=BB7_112 Depth=1
	s_delay_alu instid0(SALU_CYCLE_1)
	s_cmp_gt_u32 s14, 7
	s_cbranch_scc1 .LBB7_138
; %bb.134:                              ;   in Loop: Header=BB7_112 Depth=1
	v_mov_b64_e32 v[14:15], 0
	s_cmp_eq_u32 s14, 0
	s_cbranch_scc1 .LBB7_137
; %bb.135:                              ;   in Loop: Header=BB7_112 Depth=1
	s_wait_xcnt 0x0
	s_mov_b64 s[0:1], 0
	s_mov_b64 s[12:13], 0
.LBB7_136:                              ;   Parent Loop BB7_112 Depth=1
                                        ; =>  This Inner Loop Header: Depth=2
	s_wait_xcnt 0x0
	s_add_nc_u64 s[16:17], s[10:11], s[12:13]
	s_add_nc_u64 s[12:13], s[12:13], 1
	global_load_u8 v6, v7, s[16:17]
	s_cmp_lg_u32 s14, s12
	s_wait_loadcnt 0x0
	v_and_b32_e32 v6, 0xffff, v6
	s_delay_alu instid0(VALU_DEP_1) | instskip(SKIP_1) | instid1(VALU_DEP_1)
	v_lshlrev_b64_e32 v[16:17], s0, v[6:7]
	s_add_nc_u64 s[0:1], s[0:1], 8
	v_or_b32_e32 v14, v16, v14
	s_delay_alu instid0(VALU_DEP_2)
	v_or_b32_e32 v15, v17, v15
	s_cbranch_scc1 .LBB7_136
.LBB7_137:                              ;   in Loop: Header=BB7_112 Depth=1
	s_wait_xcnt 0x0
	s_mov_b64 s[0:1], s[10:11]
	s_mov_b32 s15, 0
	s_cbranch_execz .LBB7_139
	s_branch .LBB7_140
.LBB7_138:                              ;   in Loop: Header=BB7_112 Depth=1
	s_wait_xcnt 0x0
	s_add_nc_u64 s[0:1], s[10:11], 8
                                        ; implicit-def: $vgpr14_vgpr15
	s_mov_b32 s15, 0
.LBB7_139:                              ;   in Loop: Header=BB7_112 Depth=1
	global_load_b64 v[14:15], v7, s[10:11]
	s_add_co_i32 s15, s14, -8
.LBB7_140:                              ;   in Loop: Header=BB7_112 Depth=1
	s_delay_alu instid0(SALU_CYCLE_1)
	s_cmp_gt_u32 s15, 7
	s_cbranch_scc1 .LBB7_145
; %bb.141:                              ;   in Loop: Header=BB7_112 Depth=1
	v_mov_b64_e32 v[16:17], 0
	s_cmp_eq_u32 s15, 0
	s_cbranch_scc1 .LBB7_144
; %bb.142:                              ;   in Loop: Header=BB7_112 Depth=1
	s_wait_xcnt 0x0
	s_mov_b64 s[10:11], 0
	s_mov_b64 s[12:13], 0
.LBB7_143:                              ;   Parent Loop BB7_112 Depth=1
                                        ; =>  This Inner Loop Header: Depth=2
	s_wait_xcnt 0x0
	s_add_nc_u64 s[16:17], s[0:1], s[12:13]
	s_add_nc_u64 s[12:13], s[12:13], 1
	global_load_u8 v6, v7, s[16:17]
	s_cmp_lg_u32 s15, s12
	s_wait_loadcnt 0x0
	v_and_b32_e32 v6, 0xffff, v6
	s_delay_alu instid0(VALU_DEP_1) | instskip(SKIP_1) | instid1(VALU_DEP_1)
	v_lshlrev_b64_e32 v[18:19], s10, v[6:7]
	s_add_nc_u64 s[10:11], s[10:11], 8
	v_or_b32_e32 v16, v18, v16
	s_delay_alu instid0(VALU_DEP_2)
	v_or_b32_e32 v17, v19, v17
	s_cbranch_scc1 .LBB7_143
.LBB7_144:                              ;   in Loop: Header=BB7_112 Depth=1
	s_wait_xcnt 0x0
	s_mov_b64 s[10:11], s[0:1]
	s_mov_b32 s14, 0
	s_cbranch_execz .LBB7_146
	s_branch .LBB7_147
.LBB7_145:                              ;   in Loop: Header=BB7_112 Depth=1
	s_wait_xcnt 0x0
	s_add_nc_u64 s[10:11], s[0:1], 8
	s_mov_b32 s14, 0
.LBB7_146:                              ;   in Loop: Header=BB7_112 Depth=1
	global_load_b64 v[16:17], v7, s[0:1]
	s_add_co_i32 s14, s15, -8
.LBB7_147:                              ;   in Loop: Header=BB7_112 Depth=1
	s_delay_alu instid0(SALU_CYCLE_1)
	s_cmp_gt_u32 s14, 7
	s_cbranch_scc1 .LBB7_152
; %bb.148:                              ;   in Loop: Header=BB7_112 Depth=1
	v_mov_b64_e32 v[18:19], 0
	s_cmp_eq_u32 s14, 0
	s_cbranch_scc1 .LBB7_151
; %bb.149:                              ;   in Loop: Header=BB7_112 Depth=1
	s_wait_xcnt 0x0
	s_mov_b64 s[0:1], 0
	s_mov_b64 s[12:13], 0
.LBB7_150:                              ;   Parent Loop BB7_112 Depth=1
                                        ; =>  This Inner Loop Header: Depth=2
	s_wait_xcnt 0x0
	s_add_nc_u64 s[16:17], s[10:11], s[12:13]
	s_add_nc_u64 s[12:13], s[12:13], 1
	global_load_u8 v6, v7, s[16:17]
	s_cmp_lg_u32 s14, s12
	s_wait_loadcnt 0x0
	v_and_b32_e32 v6, 0xffff, v6
	s_delay_alu instid0(VALU_DEP_1) | instskip(SKIP_1) | instid1(VALU_DEP_1)
	v_lshlrev_b64_e32 v[20:21], s0, v[6:7]
	s_add_nc_u64 s[0:1], s[0:1], 8
	v_or_b32_e32 v18, v20, v18
	s_delay_alu instid0(VALU_DEP_2)
	v_or_b32_e32 v19, v21, v19
	s_cbranch_scc1 .LBB7_150
.LBB7_151:                              ;   in Loop: Header=BB7_112 Depth=1
	s_wait_xcnt 0x0
	s_mov_b64 s[0:1], s[10:11]
	s_mov_b32 s15, 0
	s_cbranch_execz .LBB7_153
	s_branch .LBB7_154
.LBB7_152:                              ;   in Loop: Header=BB7_112 Depth=1
	s_wait_xcnt 0x0
	s_add_nc_u64 s[0:1], s[10:11], 8
                                        ; implicit-def: $vgpr18_vgpr19
	s_mov_b32 s15, 0
.LBB7_153:                              ;   in Loop: Header=BB7_112 Depth=1
	global_load_b64 v[18:19], v7, s[10:11]
	s_add_co_i32 s15, s14, -8
.LBB7_154:                              ;   in Loop: Header=BB7_112 Depth=1
	s_delay_alu instid0(SALU_CYCLE_1)
	s_cmp_gt_u32 s15, 7
	s_cbranch_scc1 .LBB7_159
; %bb.155:                              ;   in Loop: Header=BB7_112 Depth=1
	v_mov_b64_e32 v[20:21], 0
	s_cmp_eq_u32 s15, 0
	s_cbranch_scc1 .LBB7_158
; %bb.156:                              ;   in Loop: Header=BB7_112 Depth=1
	s_wait_xcnt 0x0
	s_mov_b64 s[10:11], 0
	s_mov_b64 s[12:13], s[0:1]
.LBB7_157:                              ;   Parent Loop BB7_112 Depth=1
                                        ; =>  This Inner Loop Header: Depth=2
	global_load_u8 v6, v7, s[12:13]
	s_add_co_i32 s15, s15, -1
	s_wait_xcnt 0x0
	s_add_nc_u64 s[12:13], s[12:13], 1
	s_cmp_lg_u32 s15, 0
	s_wait_loadcnt 0x0
	v_and_b32_e32 v6, 0xffff, v6
	s_delay_alu instid0(VALU_DEP_1) | instskip(SKIP_1) | instid1(VALU_DEP_1)
	v_lshlrev_b64_e32 v[22:23], s10, v[6:7]
	s_add_nc_u64 s[10:11], s[10:11], 8
	v_or_b32_e32 v20, v22, v20
	s_delay_alu instid0(VALU_DEP_2)
	v_or_b32_e32 v21, v23, v21
	s_cbranch_scc1 .LBB7_157
.LBB7_158:                              ;   in Loop: Header=BB7_112 Depth=1
	s_wait_xcnt 0x0
	s_cbranch_execz .LBB7_160
	s_branch .LBB7_161
.LBB7_159:                              ;   in Loop: Header=BB7_112 Depth=1
	s_wait_xcnt 0x0
.LBB7_160:                              ;   in Loop: Header=BB7_112 Depth=1
	global_load_b64 v[20:21], v7, s[0:1]
.LBB7_161:                              ;   in Loop: Header=BB7_112 Depth=1
	s_wait_xcnt 0x0
	v_readfirstlane_b32 s0, v34
	v_mov_b64_e32 v[30:31], 0
	s_delay_alu instid0(VALU_DEP_2)
	v_cmp_eq_u32_e64 s0, s0, v34
	s_and_saveexec_b32 s1, s0
	s_cbranch_execz .LBB7_167
; %bb.162:                              ;   in Loop: Header=BB7_112 Depth=1
	global_load_b64 v[24:25], v7, s[2:3] offset:24 scope:SCOPE_SYS
	s_wait_loadcnt 0x0
	global_inv scope:SCOPE_SYS
	s_clause 0x1
	global_load_b64 v[22:23], v7, s[2:3] offset:40
	global_load_b64 v[30:31], v7, s[2:3]
	s_mov_b32 s10, exec_lo
	s_wait_loadcnt 0x1
	v_and_b32_e32 v22, v22, v24
	v_and_b32_e32 v23, v23, v25
	s_delay_alu instid0(VALU_DEP_1) | instskip(SKIP_1) | instid1(VALU_DEP_1)
	v_mul_u64_e32 v[22:23], 24, v[22:23]
	s_wait_loadcnt 0x0
	v_add_nc_u64_e32 v[22:23], v[30:31], v[22:23]
	global_load_b64 v[22:23], v[22:23], off scope:SCOPE_SYS
	s_wait_xcnt 0x0
	s_wait_loadcnt 0x0
	global_atomic_cmpswap_b64 v[30:31], v7, v[22:25], s[2:3] offset:24 th:TH_ATOMIC_RETURN scope:SCOPE_SYS
	s_wait_loadcnt 0x0
	global_inv scope:SCOPE_SYS
	s_wait_xcnt 0x0
	v_cmpx_ne_u64_e64 v[30:31], v[24:25]
	s_cbranch_execz .LBB7_166
; %bb.163:                              ;   in Loop: Header=BB7_112 Depth=1
	s_mov_b32 s11, 0
.LBB7_164:                              ;   Parent Loop BB7_112 Depth=1
                                        ; =>  This Inner Loop Header: Depth=2
	s_sleep 1
	s_clause 0x1
	global_load_b64 v[22:23], v7, s[2:3] offset:40
	global_load_b64 v[32:33], v7, s[2:3]
	v_mov_b64_e32 v[24:25], v[30:31]
	s_wait_loadcnt 0x1
	s_delay_alu instid0(VALU_DEP_1) | instskip(SKIP_1) | instid1(VALU_DEP_1)
	v_and_b32_e32 v6, v22, v24
	s_wait_loadcnt 0x0
	v_mad_nc_u64_u32 v[30:31], v6, 24, v[32:33]
	s_delay_alu instid0(VALU_DEP_3) | instskip(NEXT) | instid1(VALU_DEP_1)
	v_and_b32_e32 v6, v23, v25
	v_mad_u32 v31, v6, 24, v31
	global_load_b64 v[22:23], v[30:31], off scope:SCOPE_SYS
	s_wait_xcnt 0x0
	s_wait_loadcnt 0x0
	global_atomic_cmpswap_b64 v[30:31], v7, v[22:25], s[2:3] offset:24 th:TH_ATOMIC_RETURN scope:SCOPE_SYS
	s_wait_loadcnt 0x0
	global_inv scope:SCOPE_SYS
	v_cmp_eq_u64_e32 vcc_lo, v[30:31], v[24:25]
	s_or_b32 s11, vcc_lo, s11
	s_wait_xcnt 0x0
	s_and_not1_b32 exec_lo, exec_lo, s11
	s_cbranch_execnz .LBB7_164
; %bb.165:                              ;   in Loop: Header=BB7_112 Depth=1
	s_or_b32 exec_lo, exec_lo, s11
.LBB7_166:                              ;   in Loop: Header=BB7_112 Depth=1
	s_delay_alu instid0(SALU_CYCLE_1)
	s_or_b32 exec_lo, exec_lo, s10
.LBB7_167:                              ;   in Loop: Header=BB7_112 Depth=1
	s_delay_alu instid0(SALU_CYCLE_1)
	s_or_b32 exec_lo, exec_lo, s1
	s_clause 0x1
	global_load_b64 v[32:33], v7, s[2:3] offset:40
	global_load_b128 v[22:25], v7, s[2:3]
	v_readfirstlane_b32 s10, v30
	v_readfirstlane_b32 s11, v31
	s_mov_b32 s1, exec_lo
	s_wait_loadcnt 0x1
	v_and_b32_e32 v32, s10, v32
	v_and_b32_e32 v33, s11, v33
	s_delay_alu instid0(VALU_DEP_1) | instskip(SKIP_1) | instid1(VALU_DEP_1)
	v_mul_u64_e32 v[30:31], 24, v[32:33]
	s_wait_loadcnt 0x0
	v_add_nc_u64_e32 v[30:31], v[22:23], v[30:31]
	s_wait_xcnt 0x0
	s_and_saveexec_b32 s12, s0
	s_cbranch_execz .LBB7_169
; %bb.168:                              ;   in Loop: Header=BB7_112 Depth=1
	v_mov_b32_e32 v6, s1
	global_store_b128 v[30:31], v[6:9], off offset:8
.LBB7_169:                              ;   in Loop: Header=BB7_112 Depth=1
	s_wait_xcnt 0x0
	s_or_b32 exec_lo, exec_lo, s12
	v_cmp_lt_u64_e64 vcc_lo, s[6:7], 57
	v_lshlrev_b64_e32 v[32:33], 12, v[32:33]
	v_and_b32_e32 v2, 0xffffff1f, v2
	s_lshl_b32 s1, s8, 2
	s_delay_alu instid0(SALU_CYCLE_1) | instskip(SKIP_1) | instid1(VALU_DEP_3)
	s_add_co_i32 s1, s1, 28
	v_cndmask_b32_e32 v6, 0, v28, vcc_lo
	v_add_nc_u64_e32 v[24:25], v[24:25], v[32:33]
	s_delay_alu instid0(VALU_DEP_2) | instskip(NEXT) | instid1(VALU_DEP_2)
	v_or_b32_e32 v2, v2, v6
	v_readfirstlane_b32 s12, v24
	s_delay_alu instid0(VALU_DEP_3) | instskip(NEXT) | instid1(VALU_DEP_3)
	v_readfirstlane_b32 s13, v25
	v_and_or_b32 v2, 0x1e0, s1, v2
	s_clause 0x3
	global_store_b128 v26, v[2:5], s[12:13]
	global_store_b128 v26, v[10:13], s[12:13] offset:16
	global_store_b128 v26, v[14:17], s[12:13] offset:32
	global_store_b128 v26, v[18:21], s[12:13] offset:48
	s_wait_xcnt 0x0
	s_and_saveexec_b32 s1, s0
	s_cbranch_execz .LBB7_177
; %bb.170:                              ;   in Loop: Header=BB7_112 Depth=1
	s_clause 0x1
	global_load_b64 v[14:15], v7, s[2:3] offset:32 scope:SCOPE_SYS
	global_load_b64 v[2:3], v7, s[2:3] offset:40
	s_mov_b32 s12, exec_lo
	v_dual_mov_b32 v12, s10 :: v_dual_mov_b32 v13, s11
	s_wait_loadcnt 0x0
	v_and_b32_e32 v3, s11, v3
	v_and_b32_e32 v2, s10, v2
	s_delay_alu instid0(VALU_DEP_1) | instskip(NEXT) | instid1(VALU_DEP_1)
	v_mul_u64_e32 v[2:3], 24, v[2:3]
	v_add_nc_u64_e32 v[10:11], v[22:23], v[2:3]
	global_store_b64 v[10:11], v[14:15], off
	global_wb scope:SCOPE_SYS
	s_wait_storecnt 0x0
	s_wait_xcnt 0x0
	global_atomic_cmpswap_b64 v[4:5], v7, v[12:15], s[2:3] offset:32 th:TH_ATOMIC_RETURN scope:SCOPE_SYS
	s_wait_loadcnt 0x0
	v_cmpx_ne_u64_e64 v[4:5], v[14:15]
	s_cbranch_execz .LBB7_173
; %bb.171:                              ;   in Loop: Header=BB7_112 Depth=1
	s_mov_b32 s13, 0
.LBB7_172:                              ;   Parent Loop BB7_112 Depth=1
                                        ; =>  This Inner Loop Header: Depth=2
	v_dual_mov_b32 v2, s10 :: v_dual_mov_b32 v3, s11
	s_sleep 1
	global_store_b64 v[10:11], v[4:5], off
	global_wb scope:SCOPE_SYS
	s_wait_storecnt 0x0
	s_wait_xcnt 0x0
	global_atomic_cmpswap_b64 v[2:3], v7, v[2:5], s[2:3] offset:32 th:TH_ATOMIC_RETURN scope:SCOPE_SYS
	s_wait_loadcnt 0x0
	v_cmp_eq_u64_e32 vcc_lo, v[2:3], v[4:5]
	v_mov_b64_e32 v[4:5], v[2:3]
	s_or_b32 s13, vcc_lo, s13
	s_delay_alu instid0(SALU_CYCLE_1)
	s_and_not1_b32 exec_lo, exec_lo, s13
	s_cbranch_execnz .LBB7_172
.LBB7_173:                              ;   in Loop: Header=BB7_112 Depth=1
	s_or_b32 exec_lo, exec_lo, s12
	global_load_b64 v[2:3], v7, s[2:3] offset:16
	s_mov_b32 s13, exec_lo
	s_mov_b32 s12, exec_lo
	v_mbcnt_lo_u32_b32 v4, s13, 0
	s_wait_xcnt 0x0
	s_delay_alu instid0(VALU_DEP_1)
	v_cmpx_eq_u32_e32 0, v4
	s_cbranch_execz .LBB7_175
; %bb.174:                              ;   in Loop: Header=BB7_112 Depth=1
	s_bcnt1_i32_b32 s13, s13
	s_delay_alu instid0(SALU_CYCLE_1)
	v_mov_b32_e32 v6, s13
	global_wb scope:SCOPE_SYS
	s_wait_loadcnt 0x0
	s_wait_storecnt 0x0
	global_atomic_add_u64 v[2:3], v[6:7], off offset:8 scope:SCOPE_SYS
.LBB7_175:                              ;   in Loop: Header=BB7_112 Depth=1
	s_wait_xcnt 0x0
	s_or_b32 exec_lo, exec_lo, s12
	s_wait_loadcnt 0x0
	global_load_b64 v[4:5], v[2:3], off offset:16
	s_wait_loadcnt 0x0
	v_cmp_eq_u64_e32 vcc_lo, 0, v[4:5]
	s_cbranch_vccnz .LBB7_177
; %bb.176:                              ;   in Loop: Header=BB7_112 Depth=1
	global_load_b32 v6, v[2:3], off offset:24
	s_wait_loadcnt 0x0
	v_readfirstlane_b32 s12, v6
	global_wb scope:SCOPE_SYS
	s_wait_storecnt 0x0
	s_wait_xcnt 0x0
	global_store_b64 v[4:5], v[6:7], off scope:SCOPE_SYS
	s_and_b32 m0, s12, 0xffffff
	s_sendmsg sendmsg(MSG_INTERRUPT)
.LBB7_177:                              ;   in Loop: Header=BB7_112 Depth=1
	s_wait_xcnt 0x0
	s_or_b32 exec_lo, exec_lo, s1
	v_mov_b32_e32 v27, v7
	s_delay_alu instid0(VALU_DEP_1)
	v_add_nc_u64_e32 v[2:3], v[24:25], v[26:27]
	s_branch .LBB7_181
.LBB7_178:                              ;   in Loop: Header=BB7_181 Depth=2
	s_wait_xcnt 0x0
	s_or_b32 exec_lo, exec_lo, s1
	s_delay_alu instid0(VALU_DEP_1)
	v_readfirstlane_b32 s1, v4
	s_cmp_eq_u32 s1, 0
	s_cbranch_scc1 .LBB7_180
; %bb.179:                              ;   in Loop: Header=BB7_181 Depth=2
	s_sleep 1
	s_cbranch_execnz .LBB7_181
	s_branch .LBB7_183
.LBB7_180:                              ;   in Loop: Header=BB7_112 Depth=1
	s_branch .LBB7_183
.LBB7_181:                              ;   Parent Loop BB7_112 Depth=1
                                        ; =>  This Inner Loop Header: Depth=2
	v_mov_b32_e32 v4, 1
	s_and_saveexec_b32 s1, s0
	s_cbranch_execz .LBB7_178
; %bb.182:                              ;   in Loop: Header=BB7_181 Depth=2
	global_load_b32 v4, v[30:31], off offset:20 scope:SCOPE_SYS
	s_wait_loadcnt 0x0
	global_inv scope:SCOPE_SYS
	v_and_b32_e32 v4, 1, v4
	s_branch .LBB7_178
.LBB7_183:                              ;   in Loop: Header=BB7_112 Depth=1
	global_load_b64 v[2:3], v[2:3], off
	s_wait_xcnt 0x0
	s_and_saveexec_b32 s12, s0
	s_cbranch_execz .LBB7_111
; %bb.184:                              ;   in Loop: Header=BB7_112 Depth=1
	s_clause 0x2
	global_load_b64 v[4:5], v7, s[2:3] offset:40
	global_load_b64 v[14:15], v7, s[2:3] offset:24 scope:SCOPE_SYS
	global_load_b64 v[10:11], v7, s[2:3]
	s_wait_loadcnt 0x2
	v_readfirstlane_b32 s14, v4
	v_readfirstlane_b32 s15, v5
	s_add_nc_u64 s[0:1], s[14:15], 1
	s_delay_alu instid0(SALU_CYCLE_1) | instskip(NEXT) | instid1(SALU_CYCLE_1)
	s_add_nc_u64 s[10:11], s[0:1], s[10:11]
	s_cmp_eq_u64 s[10:11], 0
	s_cselect_b32 s1, s1, s11
	s_cselect_b32 s0, s0, s10
	s_delay_alu instid0(SALU_CYCLE_1) | instskip(SKIP_1) | instid1(SALU_CYCLE_1)
	v_dual_mov_b32 v13, s1 :: v_dual_mov_b32 v12, s0
	s_and_b64 s[10:11], s[0:1], s[14:15]
	s_mul_u64 s[10:11], s[10:11], 24
	s_wait_loadcnt 0x0
	v_add_nc_u64_e32 v[4:5], s[10:11], v[10:11]
	global_store_b64 v[4:5], v[14:15], off
	global_wb scope:SCOPE_SYS
	s_wait_storecnt 0x0
	s_wait_xcnt 0x0
	global_atomic_cmpswap_b64 v[12:13], v7, v[12:15], s[2:3] offset:24 th:TH_ATOMIC_RETURN scope:SCOPE_SYS
	s_wait_loadcnt 0x0
	v_cmp_ne_u64_e32 vcc_lo, v[12:13], v[14:15]
	s_and_b32 exec_lo, exec_lo, vcc_lo
	s_cbranch_execz .LBB7_111
; %bb.185:                              ;   in Loop: Header=BB7_112 Depth=1
	s_mov_b32 s10, 0
.LBB7_186:                              ;   Parent Loop BB7_112 Depth=1
                                        ; =>  This Inner Loop Header: Depth=2
	v_dual_mov_b32 v10, s0 :: v_dual_mov_b32 v11, s1
	s_sleep 1
	global_store_b64 v[4:5], v[12:13], off
	global_wb scope:SCOPE_SYS
	s_wait_storecnt 0x0
	s_wait_xcnt 0x0
	global_atomic_cmpswap_b64 v[10:11], v7, v[10:13], s[2:3] offset:24 th:TH_ATOMIC_RETURN scope:SCOPE_SYS
	s_wait_loadcnt 0x0
	v_cmp_eq_u64_e32 vcc_lo, v[10:11], v[12:13]
	v_mov_b64_e32 v[12:13], v[10:11]
	s_or_b32 s10, vcc_lo, s10
	s_delay_alu instid0(SALU_CYCLE_1)
	s_and_not1_b32 exec_lo, exec_lo, s10
	s_cbranch_execnz .LBB7_186
	s_branch .LBB7_111
.LBB7_187:
	s_branch .LBB7_244
.LBB7_188:
                                        ; implicit-def: $vgpr0_vgpr1
	s_cbranch_execz .LBB7_109
; %bb.189:
	v_readfirstlane_b32 s0, v34
	v_mov_b64_e32 v[6:7], 0
	s_delay_alu instid0(VALU_DEP_2)
	v_cmp_eq_u32_e64 s0, s0, v34
	s_and_saveexec_b32 s1, s0
	s_cbranch_execz .LBB7_195
; %bb.190:
	s_wait_loadcnt 0x0
	v_mov_b32_e32 v0, 0
	s_mov_b32 s4, exec_lo
	global_load_b64 v[8:9], v0, s[2:3] offset:24 scope:SCOPE_SYS
	s_wait_loadcnt 0x0
	global_inv scope:SCOPE_SYS
	s_clause 0x1
	global_load_b64 v[2:3], v0, s[2:3] offset:40
	global_load_b64 v[6:7], v0, s[2:3]
	s_wait_loadcnt 0x1
	v_and_b32_e32 v2, v2, v8
	v_and_b32_e32 v3, v3, v9
	s_delay_alu instid0(VALU_DEP_1) | instskip(SKIP_1) | instid1(VALU_DEP_1)
	v_mul_u64_e32 v[2:3], 24, v[2:3]
	s_wait_loadcnt 0x0
	v_add_nc_u64_e32 v[2:3], v[6:7], v[2:3]
	global_load_b64 v[6:7], v[2:3], off scope:SCOPE_SYS
	s_wait_xcnt 0x0
	s_wait_loadcnt 0x0
	global_atomic_cmpswap_b64 v[6:7], v0, v[6:9], s[2:3] offset:24 th:TH_ATOMIC_RETURN scope:SCOPE_SYS
	s_wait_loadcnt 0x0
	global_inv scope:SCOPE_SYS
	s_wait_xcnt 0x0
	v_cmpx_ne_u64_e64 v[6:7], v[8:9]
	s_cbranch_execz .LBB7_194
; %bb.191:
	s_mov_b32 s5, 0
.LBB7_192:                              ; =>This Inner Loop Header: Depth=1
	s_sleep 1
	s_clause 0x1
	global_load_b64 v[2:3], v0, s[2:3] offset:40
	global_load_b64 v[10:11], v0, s[2:3]
	v_mov_b64_e32 v[8:9], v[6:7]
	s_wait_loadcnt 0x1
	s_delay_alu instid0(VALU_DEP_1) | instskip(SKIP_1) | instid1(VALU_DEP_1)
	v_and_b32_e32 v1, v2, v8
	s_wait_loadcnt 0x0
	v_mad_nc_u64_u32 v[6:7], v1, 24, v[10:11]
	s_delay_alu instid0(VALU_DEP_3) | instskip(NEXT) | instid1(VALU_DEP_1)
	v_and_b32_e32 v1, v3, v9
	v_mad_u32 v7, v1, 24, v7
	global_load_b64 v[6:7], v[6:7], off scope:SCOPE_SYS
	s_wait_xcnt 0x0
	s_wait_loadcnt 0x0
	global_atomic_cmpswap_b64 v[6:7], v0, v[6:9], s[2:3] offset:24 th:TH_ATOMIC_RETURN scope:SCOPE_SYS
	s_wait_loadcnt 0x0
	global_inv scope:SCOPE_SYS
	v_cmp_eq_u64_e32 vcc_lo, v[6:7], v[8:9]
	s_or_b32 s5, vcc_lo, s5
	s_wait_xcnt 0x0
	s_and_not1_b32 exec_lo, exec_lo, s5
	s_cbranch_execnz .LBB7_192
; %bb.193:
	s_or_b32 exec_lo, exec_lo, s5
.LBB7_194:
	s_delay_alu instid0(SALU_CYCLE_1)
	s_or_b32 exec_lo, exec_lo, s4
.LBB7_195:
	s_delay_alu instid0(SALU_CYCLE_1)
	s_or_b32 exec_lo, exec_lo, s1
	v_readfirstlane_b32 s4, v6
	v_mov_b32_e32 v27, 0
	v_readfirstlane_b32 s5, v7
	s_mov_b32 s1, exec_lo
	global_load_b64 v[8:9], v27, s[2:3] offset:40
	s_wait_loadcnt 0x1
	global_load_b128 v[0:3], v27, s[2:3]
	s_wait_loadcnt 0x1
	v_and_b32_e32 v6, s4, v8
	v_and_b32_e32 v7, s5, v9
	s_delay_alu instid0(VALU_DEP_1) | instskip(SKIP_1) | instid1(VALU_DEP_1)
	v_mul_u64_e32 v[8:9], 24, v[6:7]
	s_wait_loadcnt 0x0
	v_add_nc_u64_e32 v[8:9], v[0:1], v[8:9]
	s_wait_xcnt 0x0
	s_and_saveexec_b32 s6, s0
	s_cbranch_execz .LBB7_197
; %bb.196:
	v_mov_b64_e32 v[12:13], 0x100000002
	v_dual_mov_b32 v10, s1 :: v_dual_mov_b32 v11, v27
	global_store_b128 v[8:9], v[10:13], off offset:8
.LBB7_197:
	s_wait_xcnt 0x0
	s_or_b32 exec_lo, exec_lo, s6
	v_lshlrev_b64_e32 v[6:7], 12, v[6:7]
	s_mov_b32 s8, 0
	v_and_or_b32 v4, 0xffffff1f, v4, 32
	s_mov_b32 s10, s8
	s_mov_b32 s11, s8
	s_mov_b32 s9, s8
	v_mov_b64_e32 v[14:15], s[10:11]
	v_add_nc_u64_e32 v[10:11], v[2:3], v[6:7]
	v_mov_b64_e32 v[12:13], s[8:9]
	v_dual_mov_b32 v6, v27 :: v_dual_mov_b32 v7, v27
	s_delay_alu instid0(VALU_DEP_3) | instskip(NEXT) | instid1(VALU_DEP_4)
	v_readfirstlane_b32 s6, v10
	v_readfirstlane_b32 s7, v11
	s_clause 0x3
	global_store_b128 v26, v[4:7], s[6:7]
	global_store_b128 v26, v[12:15], s[6:7] offset:16
	global_store_b128 v26, v[12:15], s[6:7] offset:32
	;; [unrolled: 1-line block ×3, first 2 shown]
	s_wait_xcnt 0x0
	s_and_saveexec_b32 s1, s0
	s_cbranch_execz .LBB7_205
; %bb.198:
	v_dual_mov_b32 v6, 0 :: v_dual_mov_b32 v13, s5
	s_mov_b32 s6, exec_lo
	s_clause 0x1
	global_load_b64 v[14:15], v6, s[2:3] offset:32 scope:SCOPE_SYS
	global_load_b64 v[2:3], v6, s[2:3] offset:40
	s_wait_loadcnt 0x0
	v_dual_mov_b32 v12, s4 :: v_dual_bitop2_b32 v3, s5, v3 bitop3:0x40
	v_and_b32_e32 v2, s4, v2
	s_delay_alu instid0(VALU_DEP_1) | instskip(NEXT) | instid1(VALU_DEP_1)
	v_mul_u64_e32 v[2:3], 24, v[2:3]
	v_add_nc_u64_e32 v[4:5], v[0:1], v[2:3]
	global_store_b64 v[4:5], v[14:15], off
	global_wb scope:SCOPE_SYS
	s_wait_storecnt 0x0
	s_wait_xcnt 0x0
	global_atomic_cmpswap_b64 v[2:3], v6, v[12:15], s[2:3] offset:32 th:TH_ATOMIC_RETURN scope:SCOPE_SYS
	s_wait_loadcnt 0x0
	v_cmpx_ne_u64_e64 v[2:3], v[14:15]
	s_cbranch_execz .LBB7_201
; %bb.199:
	s_mov_b32 s7, 0
.LBB7_200:                              ; =>This Inner Loop Header: Depth=1
	v_dual_mov_b32 v0, s4 :: v_dual_mov_b32 v1, s5
	s_sleep 1
	global_store_b64 v[4:5], v[2:3], off
	global_wb scope:SCOPE_SYS
	s_wait_storecnt 0x0
	s_wait_xcnt 0x0
	global_atomic_cmpswap_b64 v[0:1], v6, v[0:3], s[2:3] offset:32 th:TH_ATOMIC_RETURN scope:SCOPE_SYS
	s_wait_loadcnt 0x0
	v_cmp_eq_u64_e32 vcc_lo, v[0:1], v[2:3]
	v_mov_b64_e32 v[2:3], v[0:1]
	s_or_b32 s7, vcc_lo, s7
	s_delay_alu instid0(SALU_CYCLE_1)
	s_and_not1_b32 exec_lo, exec_lo, s7
	s_cbranch_execnz .LBB7_200
.LBB7_201:
	s_or_b32 exec_lo, exec_lo, s6
	v_mov_b32_e32 v3, 0
	s_mov_b32 s7, exec_lo
	s_mov_b32 s6, exec_lo
	v_mbcnt_lo_u32_b32 v2, s7, 0
	global_load_b64 v[0:1], v3, s[2:3] offset:16
	s_wait_xcnt 0x0
	v_cmpx_eq_u32_e32 0, v2
	s_cbranch_execz .LBB7_203
; %bb.202:
	s_bcnt1_i32_b32 s7, s7
	s_delay_alu instid0(SALU_CYCLE_1)
	v_mov_b32_e32 v2, s7
	global_wb scope:SCOPE_SYS
	s_wait_loadcnt 0x0
	s_wait_storecnt 0x0
	global_atomic_add_u64 v[0:1], v[2:3], off offset:8 scope:SCOPE_SYS
.LBB7_203:
	s_wait_xcnt 0x0
	s_or_b32 exec_lo, exec_lo, s6
	s_wait_loadcnt 0x0
	global_load_b64 v[2:3], v[0:1], off offset:16
	s_wait_loadcnt 0x0
	v_cmp_eq_u64_e32 vcc_lo, 0, v[2:3]
	s_cbranch_vccnz .LBB7_205
; %bb.204:
	global_load_b32 v0, v[0:1], off offset:24
	s_wait_xcnt 0x0
	v_mov_b32_e32 v1, 0
	s_wait_loadcnt 0x0
	v_readfirstlane_b32 s6, v0
	global_wb scope:SCOPE_SYS
	s_wait_storecnt 0x0
	global_store_b64 v[2:3], v[0:1], off scope:SCOPE_SYS
	s_and_b32 m0, s6, 0xffffff
	s_sendmsg sendmsg(MSG_INTERRUPT)
.LBB7_205:
	s_wait_xcnt 0x0
	s_or_b32 exec_lo, exec_lo, s1
	v_add_nc_u64_e32 v[0:1], v[10:11], v[26:27]
	s_branch .LBB7_209
.LBB7_206:                              ;   in Loop: Header=BB7_209 Depth=1
	s_wait_xcnt 0x0
	s_or_b32 exec_lo, exec_lo, s1
	s_delay_alu instid0(VALU_DEP_1)
	v_readfirstlane_b32 s1, v2
	s_cmp_eq_u32 s1, 0
	s_cbranch_scc1 .LBB7_208
; %bb.207:                              ;   in Loop: Header=BB7_209 Depth=1
	s_sleep 1
	s_cbranch_execnz .LBB7_209
	s_branch .LBB7_211
.LBB7_208:
	s_branch .LBB7_211
.LBB7_209:                              ; =>This Inner Loop Header: Depth=1
	v_mov_b32_e32 v2, 1
	s_and_saveexec_b32 s1, s0
	s_cbranch_execz .LBB7_206
; %bb.210:                              ;   in Loop: Header=BB7_209 Depth=1
	global_load_b32 v2, v[8:9], off offset:20 scope:SCOPE_SYS
	s_wait_loadcnt 0x0
	global_inv scope:SCOPE_SYS
	v_and_b32_e32 v2, 1, v2
	s_branch .LBB7_206
.LBB7_211:
	global_load_b64 v[0:1], v[0:1], off
	s_wait_xcnt 0x0
	s_and_saveexec_b32 s6, s0
	s_cbranch_execz .LBB7_215
; %bb.212:
	v_mov_b32_e32 v8, 0
	s_clause 0x2
	global_load_b64 v[2:3], v8, s[2:3] offset:40
	global_load_b64 v[12:13], v8, s[2:3] offset:24 scope:SCOPE_SYS
	global_load_b64 v[4:5], v8, s[2:3]
	s_wait_loadcnt 0x2
	v_readfirstlane_b32 s8, v2
	v_readfirstlane_b32 s9, v3
	s_add_nc_u64 s[0:1], s[8:9], 1
	s_delay_alu instid0(SALU_CYCLE_1) | instskip(NEXT) | instid1(SALU_CYCLE_1)
	s_add_nc_u64 s[4:5], s[0:1], s[4:5]
	s_cmp_eq_u64 s[4:5], 0
	s_cselect_b32 s1, s1, s5
	s_cselect_b32 s0, s0, s4
	v_mov_b32_e32 v11, s1
	s_and_b64 s[4:5], s[0:1], s[8:9]
	v_mov_b32_e32 v10, s0
	s_mul_u64 s[4:5], s[4:5], 24
	s_wait_loadcnt 0x0
	v_add_nc_u64_e32 v[6:7], s[4:5], v[4:5]
	global_store_b64 v[6:7], v[12:13], off
	global_wb scope:SCOPE_SYS
	s_wait_storecnt 0x0
	s_wait_xcnt 0x0
	global_atomic_cmpswap_b64 v[4:5], v8, v[10:13], s[2:3] offset:24 th:TH_ATOMIC_RETURN scope:SCOPE_SYS
	s_wait_loadcnt 0x0
	v_cmp_ne_u64_e32 vcc_lo, v[4:5], v[12:13]
	s_and_b32 exec_lo, exec_lo, vcc_lo
	s_cbranch_execz .LBB7_215
; %bb.213:
	s_mov_b32 s4, 0
.LBB7_214:                              ; =>This Inner Loop Header: Depth=1
	v_dual_mov_b32 v2, s0 :: v_dual_mov_b32 v3, s1
	s_sleep 1
	global_store_b64 v[6:7], v[4:5], off
	global_wb scope:SCOPE_SYS
	s_wait_storecnt 0x0
	s_wait_xcnt 0x0
	global_atomic_cmpswap_b64 v[2:3], v8, v[2:5], s[2:3] offset:24 th:TH_ATOMIC_RETURN scope:SCOPE_SYS
	s_wait_loadcnt 0x0
	v_cmp_eq_u64_e32 vcc_lo, v[2:3], v[4:5]
	v_mov_b64_e32 v[4:5], v[2:3]
	s_or_b32 s4, vcc_lo, s4
	s_delay_alu instid0(SALU_CYCLE_1)
	s_and_not1_b32 exec_lo, exec_lo, s4
	s_cbranch_execnz .LBB7_214
.LBB7_215:
	s_or_b32 exec_lo, exec_lo, s6
	s_get_pc_i64 s[4:5]
	s_add_nc_u64 s[4:5], s[4:5], .str.10@rel64+4
	s_delay_alu instid0(SALU_CYCLE_1)
	s_cmp_lg_u64 s[4:5], 0
	s_cbranch_scc1 .LBB7_110
.LBB7_216:
                                        ; implicit-def: $vgpr2_vgpr3
	s_cbranch_execz .LBB7_244
; %bb.217:
	v_readfirstlane_b32 s0, v34
	s_wait_loadcnt 0x0
	v_mov_b64_e32 v[2:3], 0
	s_delay_alu instid0(VALU_DEP_2)
	v_cmp_eq_u32_e64 s0, s0, v34
	s_and_saveexec_b32 s1, s0
	s_cbranch_execz .LBB7_223
; %bb.218:
	v_mov_b32_e32 v4, 0
	s_mov_b32 s4, exec_lo
	global_load_b64 v[8:9], v4, s[2:3] offset:24 scope:SCOPE_SYS
	s_wait_loadcnt 0x0
	global_inv scope:SCOPE_SYS
	s_clause 0x1
	global_load_b64 v[2:3], v4, s[2:3] offset:40
	global_load_b64 v[6:7], v4, s[2:3]
	s_wait_loadcnt 0x1
	v_and_b32_e32 v2, v2, v8
	v_and_b32_e32 v3, v3, v9
	s_delay_alu instid0(VALU_DEP_1) | instskip(SKIP_1) | instid1(VALU_DEP_1)
	v_mul_u64_e32 v[2:3], 24, v[2:3]
	s_wait_loadcnt 0x0
	v_add_nc_u64_e32 v[2:3], v[6:7], v[2:3]
	global_load_b64 v[6:7], v[2:3], off scope:SCOPE_SYS
	s_wait_xcnt 0x0
	s_wait_loadcnt 0x0
	global_atomic_cmpswap_b64 v[2:3], v4, v[6:9], s[2:3] offset:24 th:TH_ATOMIC_RETURN scope:SCOPE_SYS
	s_wait_loadcnt 0x0
	global_inv scope:SCOPE_SYS
	s_wait_xcnt 0x0
	v_cmpx_ne_u64_e64 v[2:3], v[8:9]
	s_cbranch_execz .LBB7_222
; %bb.219:
	s_mov_b32 s5, 0
.LBB7_220:                              ; =>This Inner Loop Header: Depth=1
	s_sleep 1
	s_clause 0x1
	global_load_b64 v[6:7], v4, s[2:3] offset:40
	global_load_b64 v[10:11], v4, s[2:3]
	v_mov_b64_e32 v[8:9], v[2:3]
	s_wait_loadcnt 0x1
	s_delay_alu instid0(VALU_DEP_1) | instskip(NEXT) | instid1(VALU_DEP_2)
	v_and_b32_e32 v2, v6, v8
	v_and_b32_e32 v5, v7, v9
	s_wait_loadcnt 0x0
	s_delay_alu instid0(VALU_DEP_2) | instskip(NEXT) | instid1(VALU_DEP_1)
	v_mad_nc_u64_u32 v[2:3], v2, 24, v[10:11]
	v_mad_u32 v3, v5, 24, v3
	global_load_b64 v[6:7], v[2:3], off scope:SCOPE_SYS
	s_wait_xcnt 0x0
	s_wait_loadcnt 0x0
	global_atomic_cmpswap_b64 v[2:3], v4, v[6:9], s[2:3] offset:24 th:TH_ATOMIC_RETURN scope:SCOPE_SYS
	s_wait_loadcnt 0x0
	global_inv scope:SCOPE_SYS
	v_cmp_eq_u64_e32 vcc_lo, v[2:3], v[8:9]
	s_or_b32 s5, vcc_lo, s5
	s_wait_xcnt 0x0
	s_and_not1_b32 exec_lo, exec_lo, s5
	s_cbranch_execnz .LBB7_220
; %bb.221:
	s_or_b32 exec_lo, exec_lo, s5
.LBB7_222:
	s_delay_alu instid0(SALU_CYCLE_1)
	s_or_b32 exec_lo, exec_lo, s4
.LBB7_223:
	s_delay_alu instid0(SALU_CYCLE_1)
	s_or_b32 exec_lo, exec_lo, s1
	v_readfirstlane_b32 s4, v2
	v_mov_b32_e32 v27, 0
	v_readfirstlane_b32 s5, v3
	s_mov_b32 s1, exec_lo
	s_clause 0x1
	global_load_b64 v[8:9], v27, s[2:3] offset:40
	global_load_b128 v[4:7], v27, s[2:3]
	s_wait_loadcnt 0x1
	v_and_b32_e32 v2, s4, v8
	v_and_b32_e32 v3, s5, v9
	s_delay_alu instid0(VALU_DEP_1) | instskip(SKIP_1) | instid1(VALU_DEP_1)
	v_mul_u64_e32 v[8:9], 24, v[2:3]
	s_wait_loadcnt 0x0
	v_add_nc_u64_e32 v[8:9], v[4:5], v[8:9]
	s_wait_xcnt 0x0
	s_and_saveexec_b32 s6, s0
	s_cbranch_execz .LBB7_225
; %bb.224:
	v_mov_b64_e32 v[12:13], 0x100000002
	v_dual_mov_b32 v10, s1 :: v_dual_mov_b32 v11, v27
	global_store_b128 v[8:9], v[10:13], off offset:8
.LBB7_225:
	s_wait_xcnt 0x0
	s_or_b32 exec_lo, exec_lo, s6
	v_lshlrev_b64_e32 v[2:3], 12, v[2:3]
	s_mov_b32 s8, 0
	v_and_or_b32 v0, 0xffffff1f, v0, 32
	s_mov_b32 s10, s8
	s_mov_b32 s11, s8
	;; [unrolled: 1-line block ×3, first 2 shown]
	v_mov_b64_e32 v[12:13], s[10:11]
	v_add_nc_u64_e32 v[6:7], v[6:7], v[2:3]
	v_mov_b64_e32 v[10:11], s[8:9]
	v_dual_mov_b32 v2, v27 :: v_dual_mov_b32 v3, v27
	s_delay_alu instid0(VALU_DEP_3) | instskip(NEXT) | instid1(VALU_DEP_4)
	v_readfirstlane_b32 s6, v6
	v_readfirstlane_b32 s7, v7
	s_clause 0x3
	global_store_b128 v26, v[0:3], s[6:7]
	global_store_b128 v26, v[10:13], s[6:7] offset:16
	global_store_b128 v26, v[10:13], s[6:7] offset:32
	;; [unrolled: 1-line block ×3, first 2 shown]
	s_wait_xcnt 0x0
	s_and_saveexec_b32 s1, s0
	s_cbranch_execz .LBB7_233
; %bb.226:
	v_dual_mov_b32 v10, 0 :: v_dual_mov_b32 v13, s5
	s_mov_b32 s6, exec_lo
	s_clause 0x1
	global_load_b64 v[14:15], v10, s[2:3] offset:32 scope:SCOPE_SYS
	global_load_b64 v[0:1], v10, s[2:3] offset:40
	s_wait_loadcnt 0x0
	v_dual_mov_b32 v12, s4 :: v_dual_bitop2_b32 v1, s5, v1 bitop3:0x40
	v_and_b32_e32 v0, s4, v0
	s_delay_alu instid0(VALU_DEP_1) | instskip(NEXT) | instid1(VALU_DEP_1)
	v_mul_u64_e32 v[0:1], 24, v[0:1]
	v_add_nc_u64_e32 v[4:5], v[4:5], v[0:1]
	global_store_b64 v[4:5], v[14:15], off
	global_wb scope:SCOPE_SYS
	s_wait_storecnt 0x0
	s_wait_xcnt 0x0
	global_atomic_cmpswap_b64 v[2:3], v10, v[12:15], s[2:3] offset:32 th:TH_ATOMIC_RETURN scope:SCOPE_SYS
	s_wait_loadcnt 0x0
	v_cmpx_ne_u64_e64 v[2:3], v[14:15]
	s_cbranch_execz .LBB7_229
; %bb.227:
	s_mov_b32 s7, 0
.LBB7_228:                              ; =>This Inner Loop Header: Depth=1
	v_dual_mov_b32 v0, s4 :: v_dual_mov_b32 v1, s5
	s_sleep 1
	global_store_b64 v[4:5], v[2:3], off
	global_wb scope:SCOPE_SYS
	s_wait_storecnt 0x0
	s_wait_xcnt 0x0
	global_atomic_cmpswap_b64 v[0:1], v10, v[0:3], s[2:3] offset:32 th:TH_ATOMIC_RETURN scope:SCOPE_SYS
	s_wait_loadcnt 0x0
	v_cmp_eq_u64_e32 vcc_lo, v[0:1], v[2:3]
	v_mov_b64_e32 v[2:3], v[0:1]
	s_or_b32 s7, vcc_lo, s7
	s_delay_alu instid0(SALU_CYCLE_1)
	s_and_not1_b32 exec_lo, exec_lo, s7
	s_cbranch_execnz .LBB7_228
.LBB7_229:
	s_or_b32 exec_lo, exec_lo, s6
	v_mov_b32_e32 v3, 0
	s_mov_b32 s7, exec_lo
	s_mov_b32 s6, exec_lo
	v_mbcnt_lo_u32_b32 v2, s7, 0
	global_load_b64 v[0:1], v3, s[2:3] offset:16
	s_wait_xcnt 0x0
	v_cmpx_eq_u32_e32 0, v2
	s_cbranch_execz .LBB7_231
; %bb.230:
	s_bcnt1_i32_b32 s7, s7
	s_delay_alu instid0(SALU_CYCLE_1)
	v_mov_b32_e32 v2, s7
	global_wb scope:SCOPE_SYS
	s_wait_loadcnt 0x0
	s_wait_storecnt 0x0
	global_atomic_add_u64 v[0:1], v[2:3], off offset:8 scope:SCOPE_SYS
.LBB7_231:
	s_wait_xcnt 0x0
	s_or_b32 exec_lo, exec_lo, s6
	s_wait_loadcnt 0x0
	global_load_b64 v[2:3], v[0:1], off offset:16
	s_wait_loadcnt 0x0
	v_cmp_eq_u64_e32 vcc_lo, 0, v[2:3]
	s_cbranch_vccnz .LBB7_233
; %bb.232:
	global_load_b32 v0, v[0:1], off offset:24
	s_wait_xcnt 0x0
	v_mov_b32_e32 v1, 0
	s_wait_loadcnt 0x0
	v_readfirstlane_b32 s6, v0
	global_wb scope:SCOPE_SYS
	s_wait_storecnt 0x0
	global_store_b64 v[2:3], v[0:1], off scope:SCOPE_SYS
	s_and_b32 m0, s6, 0xffffff
	s_sendmsg sendmsg(MSG_INTERRUPT)
.LBB7_233:
	s_wait_xcnt 0x0
	s_or_b32 exec_lo, exec_lo, s1
	v_add_nc_u64_e32 v[0:1], v[6:7], v[26:27]
	s_branch .LBB7_237
.LBB7_234:                              ;   in Loop: Header=BB7_237 Depth=1
	s_wait_xcnt 0x0
	s_or_b32 exec_lo, exec_lo, s1
	s_delay_alu instid0(VALU_DEP_1)
	v_readfirstlane_b32 s1, v2
	s_cmp_eq_u32 s1, 0
	s_cbranch_scc1 .LBB7_236
; %bb.235:                              ;   in Loop: Header=BB7_237 Depth=1
	s_sleep 1
	s_cbranch_execnz .LBB7_237
	s_branch .LBB7_239
.LBB7_236:
	s_branch .LBB7_239
.LBB7_237:                              ; =>This Inner Loop Header: Depth=1
	v_mov_b32_e32 v2, 1
	s_and_saveexec_b32 s1, s0
	s_cbranch_execz .LBB7_234
; %bb.238:                              ;   in Loop: Header=BB7_237 Depth=1
	global_load_b32 v2, v[8:9], off offset:20 scope:SCOPE_SYS
	s_wait_loadcnt 0x0
	global_inv scope:SCOPE_SYS
	v_and_b32_e32 v2, 1, v2
	s_branch .LBB7_234
.LBB7_239:
	global_load_b64 v[2:3], v[0:1], off
	s_wait_xcnt 0x0
	s_and_saveexec_b32 s6, s0
	s_cbranch_execz .LBB7_243
; %bb.240:
	v_mov_b32_e32 v8, 0
	s_clause 0x2
	global_load_b64 v[0:1], v8, s[2:3] offset:40
	global_load_b64 v[12:13], v8, s[2:3] offset:24 scope:SCOPE_SYS
	global_load_b64 v[4:5], v8, s[2:3]
	s_wait_loadcnt 0x2
	v_readfirstlane_b32 s8, v0
	v_readfirstlane_b32 s9, v1
	s_add_nc_u64 s[0:1], s[8:9], 1
	s_delay_alu instid0(SALU_CYCLE_1) | instskip(NEXT) | instid1(SALU_CYCLE_1)
	s_add_nc_u64 s[4:5], s[0:1], s[4:5]
	s_cmp_eq_u64 s[4:5], 0
	s_cselect_b32 s1, s1, s5
	s_cselect_b32 s0, s0, s4
	v_mov_b32_e32 v11, s1
	s_and_b64 s[4:5], s[0:1], s[8:9]
	v_mov_b32_e32 v10, s0
	s_mul_u64 s[4:5], s[4:5], 24
	s_wait_loadcnt 0x0
	v_add_nc_u64_e32 v[0:1], s[4:5], v[4:5]
	global_store_b64 v[0:1], v[12:13], off
	global_wb scope:SCOPE_SYS
	s_wait_storecnt 0x0
	s_wait_xcnt 0x0
	global_atomic_cmpswap_b64 v[6:7], v8, v[10:13], s[2:3] offset:24 th:TH_ATOMIC_RETURN scope:SCOPE_SYS
	s_wait_loadcnt 0x0
	v_cmp_ne_u64_e32 vcc_lo, v[6:7], v[12:13]
	s_and_b32 exec_lo, exec_lo, vcc_lo
	s_cbranch_execz .LBB7_243
; %bb.241:
	s_mov_b32 s4, 0
.LBB7_242:                              ; =>This Inner Loop Header: Depth=1
	v_dual_mov_b32 v4, s0 :: v_dual_mov_b32 v5, s1
	s_sleep 1
	global_store_b64 v[0:1], v[6:7], off
	global_wb scope:SCOPE_SYS
	s_wait_storecnt 0x0
	s_wait_xcnt 0x0
	global_atomic_cmpswap_b64 v[4:5], v8, v[4:7], s[2:3] offset:24 th:TH_ATOMIC_RETURN scope:SCOPE_SYS
	s_wait_loadcnt 0x0
	v_cmp_eq_u64_e32 vcc_lo, v[4:5], v[6:7]
	v_mov_b64_e32 v[6:7], v[4:5]
	s_or_b32 s4, vcc_lo, s4
	s_delay_alu instid0(SALU_CYCLE_1)
	s_and_not1_b32 exec_lo, exec_lo, s4
	s_cbranch_execnz .LBB7_242
.LBB7_243:
	s_or_b32 exec_lo, exec_lo, s6
.LBB7_244:
	v_readfirstlane_b32 s0, v34
	s_wait_loadcnt 0x0
	v_mov_b64_e32 v[0:1], 0
	s_delay_alu instid0(VALU_DEP_2)
	v_cmp_eq_u32_e64 s0, s0, v34
	s_and_saveexec_b32 s1, s0
	s_cbranch_execz .LBB7_250
; %bb.245:
	v_mov_b32_e32 v4, 0
	s_mov_b32 s4, exec_lo
	global_load_b64 v[8:9], v4, s[2:3] offset:24 scope:SCOPE_SYS
	s_wait_loadcnt 0x0
	global_inv scope:SCOPE_SYS
	s_clause 0x1
	global_load_b64 v[0:1], v4, s[2:3] offset:40
	global_load_b64 v[6:7], v4, s[2:3]
	s_wait_loadcnt 0x1
	v_and_b32_e32 v0, v0, v8
	v_and_b32_e32 v1, v1, v9
	s_delay_alu instid0(VALU_DEP_1) | instskip(SKIP_1) | instid1(VALU_DEP_1)
	v_mul_u64_e32 v[0:1], 24, v[0:1]
	s_wait_loadcnt 0x0
	v_add_nc_u64_e32 v[0:1], v[6:7], v[0:1]
	global_load_b64 v[6:7], v[0:1], off scope:SCOPE_SYS
	s_wait_xcnt 0x0
	s_wait_loadcnt 0x0
	global_atomic_cmpswap_b64 v[0:1], v4, v[6:9], s[2:3] offset:24 th:TH_ATOMIC_RETURN scope:SCOPE_SYS
	s_wait_loadcnt 0x0
	global_inv scope:SCOPE_SYS
	s_wait_xcnt 0x0
	v_cmpx_ne_u64_e64 v[0:1], v[8:9]
	s_cbranch_execz .LBB7_249
; %bb.246:
	s_mov_b32 s5, 0
.LBB7_247:                              ; =>This Inner Loop Header: Depth=1
	s_sleep 1
	s_clause 0x1
	global_load_b64 v[6:7], v4, s[2:3] offset:40
	global_load_b64 v[10:11], v4, s[2:3]
	v_mov_b64_e32 v[8:9], v[0:1]
	s_wait_loadcnt 0x1
	s_delay_alu instid0(VALU_DEP_1) | instskip(NEXT) | instid1(VALU_DEP_2)
	v_and_b32_e32 v0, v6, v8
	v_and_b32_e32 v5, v7, v9
	s_wait_loadcnt 0x0
	s_delay_alu instid0(VALU_DEP_2) | instskip(NEXT) | instid1(VALU_DEP_1)
	v_mad_nc_u64_u32 v[0:1], v0, 24, v[10:11]
	v_mad_u32 v1, v5, 24, v1
	global_load_b64 v[6:7], v[0:1], off scope:SCOPE_SYS
	s_wait_xcnt 0x0
	s_wait_loadcnt 0x0
	global_atomic_cmpswap_b64 v[0:1], v4, v[6:9], s[2:3] offset:24 th:TH_ATOMIC_RETURN scope:SCOPE_SYS
	s_wait_loadcnt 0x0
	global_inv scope:SCOPE_SYS
	v_cmp_eq_u64_e32 vcc_lo, v[0:1], v[8:9]
	s_or_b32 s5, vcc_lo, s5
	s_wait_xcnt 0x0
	s_and_not1_b32 exec_lo, exec_lo, s5
	s_cbranch_execnz .LBB7_247
; %bb.248:
	s_or_b32 exec_lo, exec_lo, s5
.LBB7_249:
	s_delay_alu instid0(SALU_CYCLE_1)
	s_or_b32 exec_lo, exec_lo, s4
.LBB7_250:
	s_delay_alu instid0(SALU_CYCLE_1)
	s_or_b32 exec_lo, exec_lo, s1
	v_readfirstlane_b32 s4, v0
	v_mov_b32_e32 v5, 0
	v_readfirstlane_b32 s5, v1
	s_mov_b32 s1, exec_lo
	s_clause 0x1
	global_load_b64 v[10:11], v5, s[2:3] offset:40
	global_load_b128 v[6:9], v5, s[2:3]
	s_wait_loadcnt 0x1
	v_and_b32_e32 v0, s4, v10
	v_and_b32_e32 v1, s5, v11
	s_delay_alu instid0(VALU_DEP_1) | instskip(SKIP_1) | instid1(VALU_DEP_1)
	v_mul_u64_e32 v[10:11], 24, v[0:1]
	s_wait_loadcnt 0x0
	v_add_nc_u64_e32 v[10:11], v[6:7], v[10:11]
	s_wait_xcnt 0x0
	s_and_saveexec_b32 s6, s0
	s_cbranch_execz .LBB7_252
; %bb.251:
	v_mov_b32_e32 v4, s1
	v_mov_b64_e32 v[14:15], 0x100000002
	s_delay_alu instid0(VALU_DEP_2)
	v_mov_b64_e32 v[12:13], v[4:5]
	global_store_b128 v[10:11], v[12:15], off offset:8
.LBB7_252:
	s_wait_xcnt 0x0
	s_or_b32 exec_lo, exec_lo, s6
	v_lshlrev_b64_e32 v[0:1], 12, v[0:1]
	s_mov_b32 s8, 0
	v_and_or_b32 v2, 0xffffff1d, v2, 34
	s_mov_b32 s10, s8
	s_mov_b32 s11, s8
	;; [unrolled: 1-line block ×3, first 2 shown]
	v_mov_b64_e32 v[14:15], s[10:11]
	v_add_nc_u64_e32 v[0:1], v[8:9], v[0:1]
	v_mov_b64_e32 v[12:13], s[8:9]
	s_wait_dscnt 0x0
	v_mov_b32_e32 v4, v29
	s_delay_alu instid0(VALU_DEP_3) | instskip(NEXT) | instid1(VALU_DEP_4)
	v_readfirstlane_b32 s6, v0
	v_readfirstlane_b32 s7, v1
	s_clause 0x3
	global_store_b128 v26, v[2:5], s[6:7]
	global_store_b128 v26, v[12:15], s[6:7] offset:16
	global_store_b128 v26, v[12:15], s[6:7] offset:32
	;; [unrolled: 1-line block ×3, first 2 shown]
	s_wait_xcnt 0x0
	s_and_saveexec_b32 s1, s0
	s_cbranch_execz .LBB7_260
; %bb.253:
	v_dual_mov_b32 v8, 0 :: v_dual_mov_b32 v13, s5
	s_mov_b32 s6, exec_lo
	s_clause 0x1
	global_load_b64 v[14:15], v8, s[2:3] offset:32 scope:SCOPE_SYS
	global_load_b64 v[0:1], v8, s[2:3] offset:40
	s_wait_loadcnt 0x0
	v_dual_mov_b32 v12, s4 :: v_dual_bitop2_b32 v1, s5, v1 bitop3:0x40
	v_and_b32_e32 v0, s4, v0
	s_delay_alu instid0(VALU_DEP_1) | instskip(NEXT) | instid1(VALU_DEP_1)
	v_mul_u64_e32 v[0:1], 24, v[0:1]
	v_add_nc_u64_e32 v[4:5], v[6:7], v[0:1]
	global_store_b64 v[4:5], v[14:15], off
	global_wb scope:SCOPE_SYS
	s_wait_storecnt 0x0
	s_wait_xcnt 0x0
	global_atomic_cmpswap_b64 v[2:3], v8, v[12:15], s[2:3] offset:32 th:TH_ATOMIC_RETURN scope:SCOPE_SYS
	s_wait_loadcnt 0x0
	v_cmpx_ne_u64_e64 v[2:3], v[14:15]
	s_cbranch_execz .LBB7_256
; %bb.254:
	s_mov_b32 s7, 0
.LBB7_255:                              ; =>This Inner Loop Header: Depth=1
	v_dual_mov_b32 v0, s4 :: v_dual_mov_b32 v1, s5
	s_sleep 1
	global_store_b64 v[4:5], v[2:3], off
	global_wb scope:SCOPE_SYS
	s_wait_storecnt 0x0
	s_wait_xcnt 0x0
	global_atomic_cmpswap_b64 v[0:1], v8, v[0:3], s[2:3] offset:32 th:TH_ATOMIC_RETURN scope:SCOPE_SYS
	s_wait_loadcnt 0x0
	v_cmp_eq_u64_e32 vcc_lo, v[0:1], v[2:3]
	v_mov_b64_e32 v[2:3], v[0:1]
	s_or_b32 s7, vcc_lo, s7
	s_delay_alu instid0(SALU_CYCLE_1)
	s_and_not1_b32 exec_lo, exec_lo, s7
	s_cbranch_execnz .LBB7_255
.LBB7_256:
	s_or_b32 exec_lo, exec_lo, s6
	v_mov_b32_e32 v3, 0
	s_mov_b32 s7, exec_lo
	s_mov_b32 s6, exec_lo
	v_mbcnt_lo_u32_b32 v2, s7, 0
	global_load_b64 v[0:1], v3, s[2:3] offset:16
	s_wait_xcnt 0x0
	v_cmpx_eq_u32_e32 0, v2
	s_cbranch_execz .LBB7_258
; %bb.257:
	s_bcnt1_i32_b32 s7, s7
	s_delay_alu instid0(SALU_CYCLE_1)
	v_mov_b32_e32 v2, s7
	global_wb scope:SCOPE_SYS
	s_wait_loadcnt 0x0
	s_wait_storecnt 0x0
	global_atomic_add_u64 v[0:1], v[2:3], off offset:8 scope:SCOPE_SYS
.LBB7_258:
	s_wait_xcnt 0x0
	s_or_b32 exec_lo, exec_lo, s6
	s_wait_loadcnt 0x0
	global_load_b64 v[2:3], v[0:1], off offset:16
	s_wait_loadcnt 0x0
	v_cmp_eq_u64_e32 vcc_lo, 0, v[2:3]
	s_cbranch_vccnz .LBB7_260
; %bb.259:
	global_load_b32 v0, v[0:1], off offset:24
	s_wait_xcnt 0x0
	v_mov_b32_e32 v1, 0
	s_wait_loadcnt 0x0
	v_readfirstlane_b32 s6, v0
	global_wb scope:SCOPE_SYS
	s_wait_storecnt 0x0
	global_store_b64 v[2:3], v[0:1], off scope:SCOPE_SYS
	s_and_b32 m0, s6, 0xffffff
	s_sendmsg sendmsg(MSG_INTERRUPT)
.LBB7_260:
	s_wait_xcnt 0x0
	s_or_b32 exec_lo, exec_lo, s1
	s_branch .LBB7_264
.LBB7_261:                              ;   in Loop: Header=BB7_264 Depth=1
	s_wait_xcnt 0x0
	s_or_b32 exec_lo, exec_lo, s1
	s_delay_alu instid0(VALU_DEP_1)
	v_readfirstlane_b32 s1, v0
	s_cmp_eq_u32 s1, 0
	s_cbranch_scc1 .LBB7_263
; %bb.262:                              ;   in Loop: Header=BB7_264 Depth=1
	s_sleep 1
	s_cbranch_execnz .LBB7_264
	s_branch .LBB7_266
.LBB7_263:
	s_branch .LBB7_266
.LBB7_264:                              ; =>This Inner Loop Header: Depth=1
	v_mov_b32_e32 v0, 1
	s_and_saveexec_b32 s1, s0
	s_cbranch_execz .LBB7_261
; %bb.265:                              ;   in Loop: Header=BB7_264 Depth=1
	global_load_b32 v0, v[10:11], off offset:20 scope:SCOPE_SYS
	s_wait_loadcnt 0x0
	global_inv scope:SCOPE_SYS
	v_and_b32_e32 v0, 1, v0
	s_branch .LBB7_261
.LBB7_266:
	s_and_saveexec_b32 s1, s0
	s_cbranch_execz .LBB7_270
; %bb.267:
	v_mov_b32_e32 v6, 0
	s_clause 0x2
	global_load_b64 v[0:1], v6, s[2:3] offset:40
	global_load_b64 v[10:11], v6, s[2:3] offset:24 scope:SCOPE_SYS
	global_load_b64 v[2:3], v6, s[2:3]
	s_wait_loadcnt 0x2
	v_readfirstlane_b32 s6, v0
	v_readfirstlane_b32 s7, v1
	s_add_nc_u64 s[0:1], s[6:7], 1
	s_delay_alu instid0(SALU_CYCLE_1) | instskip(NEXT) | instid1(SALU_CYCLE_1)
	s_add_nc_u64 s[4:5], s[0:1], s[4:5]
	s_cmp_eq_u64 s[4:5], 0
	s_cselect_b32 s1, s1, s5
	s_cselect_b32 s0, s0, s4
	v_mov_b32_e32 v9, s1
	s_and_b64 s[4:5], s[0:1], s[6:7]
	v_mov_b32_e32 v8, s0
	s_mul_u64 s[4:5], s[4:5], 24
	s_wait_loadcnt 0x0
	v_add_nc_u64_e32 v[4:5], s[4:5], v[2:3]
	global_store_b64 v[4:5], v[10:11], off
	global_wb scope:SCOPE_SYS
	s_wait_storecnt 0x0
	s_wait_xcnt 0x0
	global_atomic_cmpswap_b64 v[2:3], v6, v[8:11], s[2:3] offset:24 th:TH_ATOMIC_RETURN scope:SCOPE_SYS
	s_wait_loadcnt 0x0
	v_cmp_ne_u64_e32 vcc_lo, v[2:3], v[10:11]
	s_and_b32 exec_lo, exec_lo, vcc_lo
	s_cbranch_execz .LBB7_270
; %bb.268:
	s_mov_b32 s4, 0
.LBB7_269:                              ; =>This Inner Loop Header: Depth=1
	v_dual_mov_b32 v0, s0 :: v_dual_mov_b32 v1, s1
	s_sleep 1
	global_store_b64 v[4:5], v[2:3], off
	global_wb scope:SCOPE_SYS
	s_wait_storecnt 0x0
	s_wait_xcnt 0x0
	global_atomic_cmpswap_b64 v[0:1], v6, v[0:3], s[2:3] offset:24 th:TH_ATOMIC_RETURN scope:SCOPE_SYS
	s_wait_loadcnt 0x0
	v_cmp_eq_u64_e32 vcc_lo, v[0:1], v[2:3]
	v_mov_b64_e32 v[2:3], v[0:1]
	s_or_b32 s4, vcc_lo, s4
	s_delay_alu instid0(SALU_CYCLE_1)
	s_and_not1_b32 exec_lo, exec_lo, s4
	s_cbranch_execnz .LBB7_269
.LBB7_270:
	s_endpgm
	.section	.rodata,"a",@progbits
	.p2align	6, 0x0
	.amdhsa_kernel _ZN19hipPrintfStressTest17kernel_shared_memEv
		.amdhsa_group_segment_fixed_size 4
		.amdhsa_private_segment_fixed_size 0
		.amdhsa_kernarg_size 256
		.amdhsa_user_sgpr_count 2
		.amdhsa_user_sgpr_dispatch_ptr 0
		.amdhsa_user_sgpr_queue_ptr 0
		.amdhsa_user_sgpr_kernarg_segment_ptr 1
		.amdhsa_user_sgpr_dispatch_id 0
		.amdhsa_user_sgpr_kernarg_preload_length 0
		.amdhsa_user_sgpr_kernarg_preload_offset 0
		.amdhsa_user_sgpr_private_segment_size 0
		.amdhsa_wavefront_size32 1
		.amdhsa_uses_dynamic_stack 0
		.amdhsa_enable_private_segment 0
		.amdhsa_system_sgpr_workgroup_id_x 1
		.amdhsa_system_sgpr_workgroup_id_y 0
		.amdhsa_system_sgpr_workgroup_id_z 0
		.amdhsa_system_sgpr_workgroup_info 0
		.amdhsa_system_vgpr_workitem_id 0
		.amdhsa_next_free_vgpr 35
		.amdhsa_next_free_sgpr 18
		.amdhsa_named_barrier_count 0
		.amdhsa_reserve_vcc 1
		.amdhsa_float_round_mode_32 0
		.amdhsa_float_round_mode_16_64 0
		.amdhsa_float_denorm_mode_32 3
		.amdhsa_float_denorm_mode_16_64 3
		.amdhsa_fp16_overflow 0
		.amdhsa_memory_ordered 1
		.amdhsa_forward_progress 1
		.amdhsa_inst_pref_size 86
		.amdhsa_round_robin_scheduling 0
		.amdhsa_exception_fp_ieee_invalid_op 0
		.amdhsa_exception_fp_denorm_src 0
		.amdhsa_exception_fp_ieee_div_zero 0
		.amdhsa_exception_fp_ieee_overflow 0
		.amdhsa_exception_fp_ieee_underflow 0
		.amdhsa_exception_fp_ieee_inexact 0
		.amdhsa_exception_int_div_zero 0
	.end_amdhsa_kernel
	.text
.Lfunc_end7:
	.size	_ZN19hipPrintfStressTest17kernel_shared_memEv, .Lfunc_end7-_ZN19hipPrintfStressTest17kernel_shared_memEv
                                        ; -- End function
	.set _ZN19hipPrintfStressTest17kernel_shared_memEv.num_vgpr, 35
	.set _ZN19hipPrintfStressTest17kernel_shared_memEv.num_agpr, 0
	.set _ZN19hipPrintfStressTest17kernel_shared_memEv.numbered_sgpr, 18
	.set _ZN19hipPrintfStressTest17kernel_shared_memEv.num_named_barrier, 0
	.set _ZN19hipPrintfStressTest17kernel_shared_memEv.private_seg_size, 0
	.set _ZN19hipPrintfStressTest17kernel_shared_memEv.uses_vcc, 1
	.set _ZN19hipPrintfStressTest17kernel_shared_memEv.uses_flat_scratch, 0
	.set _ZN19hipPrintfStressTest17kernel_shared_memEv.has_dyn_sized_stack, 0
	.set _ZN19hipPrintfStressTest17kernel_shared_memEv.has_recursion, 0
	.set _ZN19hipPrintfStressTest17kernel_shared_memEv.has_indirect_call, 0
	.section	.AMDGPU.csdata,"",@progbits
; Kernel info:
; codeLenInByte = 10884
; TotalNumSgprs: 20
; NumVgprs: 35
; ScratchSize: 0
; MemoryBound: 0
; FloatMode: 240
; IeeeMode: 1
; LDSByteSize: 4 bytes/workgroup (compile time only)
; SGPRBlocks: 0
; VGPRBlocks: 2
; NumSGPRsForWavesPerEU: 20
; NumVGPRsForWavesPerEU: 35
; NamedBarCnt: 0
; Occupancy: 16
; WaveLimiterHint : 1
; COMPUTE_PGM_RSRC2:SCRATCH_EN: 0
; COMPUTE_PGM_RSRC2:USER_SGPR: 2
; COMPUTE_PGM_RSRC2:TRAP_HANDLER: 0
; COMPUTE_PGM_RSRC2:TGID_X_EN: 1
; COMPUTE_PGM_RSRC2:TGID_Y_EN: 0
; COMPUTE_PGM_RSRC2:TGID_Z_EN: 0
; COMPUTE_PGM_RSRC2:TIDIG_COMP_CNT: 0
	.text
	.protected	_ZN19hipPrintfStressTest26kernel_synchronized_printfEv ; -- Begin function _ZN19hipPrintfStressTest26kernel_synchronized_printfEv
	.globl	_ZN19hipPrintfStressTest26kernel_synchronized_printfEv
	.p2align	8
	.type	_ZN19hipPrintfStressTest26kernel_synchronized_printfEv,@function
_ZN19hipPrintfStressTest26kernel_synchronized_printfEv: ; @_ZN19hipPrintfStressTest26kernel_synchronized_printfEv
; %bb.0:
	s_load_b64 s[2:3], s[0:1], 0x50
	v_mbcnt_lo_u32_b32 v29, -1, 0
	v_mov_b64_e32 v[2:3], 0
	s_wait_xcnt 0x0
	s_delay_alu instid0(VALU_DEP_2) | instskip(NEXT) | instid1(VALU_DEP_1)
	v_readfirstlane_b32 s0, v29
	v_cmp_eq_u32_e64 s0, s0, v29
	s_and_saveexec_b32 s1, s0
	s_cbranch_execz .LBB8_6
; %bb.1:
	v_mov_b32_e32 v0, 0
	s_mov_b32 s4, exec_lo
	s_wait_kmcnt 0x0
	global_load_b64 v[4:5], v0, s[2:3] offset:24 scope:SCOPE_SYS
	s_wait_loadcnt 0x0
	global_inv scope:SCOPE_SYS
	s_clause 0x1
	global_load_b64 v[2:3], v0, s[2:3] offset:40
	global_load_b64 v[6:7], v0, s[2:3]
	s_wait_loadcnt 0x1
	v_and_b32_e32 v2, v2, v4
	v_and_b32_e32 v3, v3, v5
	s_delay_alu instid0(VALU_DEP_1) | instskip(SKIP_1) | instid1(VALU_DEP_1)
	v_mul_u64_e32 v[2:3], 24, v[2:3]
	s_wait_loadcnt 0x0
	v_add_nc_u64_e32 v[2:3], v[6:7], v[2:3]
	global_load_b64 v[2:3], v[2:3], off scope:SCOPE_SYS
	s_wait_xcnt 0x0
	s_wait_loadcnt 0x0
	global_atomic_cmpswap_b64 v[2:3], v0, v[2:5], s[2:3] offset:24 th:TH_ATOMIC_RETURN scope:SCOPE_SYS
	s_wait_loadcnt 0x0
	global_inv scope:SCOPE_SYS
	s_wait_xcnt 0x0
	v_cmpx_ne_u64_e64 v[2:3], v[4:5]
	s_cbranch_execz .LBB8_5
; %bb.2:
	s_mov_b32 s5, 0
.LBB8_3:                                ; =>This Inner Loop Header: Depth=1
	s_sleep 1
	s_clause 0x1
	global_load_b64 v[6:7], v0, s[2:3] offset:40
	global_load_b64 v[8:9], v0, s[2:3]
	v_mov_b64_e32 v[4:5], v[2:3]
	s_wait_loadcnt 0x1
	s_delay_alu instid0(VALU_DEP_1) | instskip(SKIP_1) | instid1(VALU_DEP_1)
	v_and_b32_e32 v1, v6, v4
	s_wait_loadcnt 0x0
	v_mad_nc_u64_u32 v[2:3], v1, 24, v[8:9]
	s_delay_alu instid0(VALU_DEP_3) | instskip(NEXT) | instid1(VALU_DEP_1)
	v_and_b32_e32 v1, v7, v5
	v_mad_u32 v3, v1, 24, v3
	global_load_b64 v[2:3], v[2:3], off scope:SCOPE_SYS
	s_wait_xcnt 0x0
	s_wait_loadcnt 0x0
	global_atomic_cmpswap_b64 v[2:3], v0, v[2:5], s[2:3] offset:24 th:TH_ATOMIC_RETURN scope:SCOPE_SYS
	s_wait_loadcnt 0x0
	global_inv scope:SCOPE_SYS
	v_cmp_eq_u64_e32 vcc_lo, v[2:3], v[4:5]
	s_or_b32 s5, vcc_lo, s5
	s_wait_xcnt 0x0
	s_and_not1_b32 exec_lo, exec_lo, s5
	s_cbranch_execnz .LBB8_3
; %bb.4:
	s_or_b32 exec_lo, exec_lo, s5
.LBB8_5:
	s_delay_alu instid0(SALU_CYCLE_1)
	s_or_b32 exec_lo, exec_lo, s4
.LBB8_6:
	s_delay_alu instid0(SALU_CYCLE_1)
	s_or_b32 exec_lo, exec_lo, s1
	v_readfirstlane_b32 s4, v2
	v_mov_b32_e32 v1, 0
	v_readfirstlane_b32 s5, v3
	s_mov_b32 s1, exec_lo
	s_wait_kmcnt 0x0
	s_clause 0x1
	global_load_b64 v[8:9], v1, s[2:3] offset:40
	global_load_b128 v[4:7], v1, s[2:3]
	s_wait_loadcnt 0x1
	v_and_b32_e32 v10, s4, v8
	v_and_b32_e32 v11, s5, v9
	s_delay_alu instid0(VALU_DEP_1) | instskip(SKIP_1) | instid1(VALU_DEP_1)
	v_mul_u64_e32 v[2:3], 24, v[10:11]
	s_wait_loadcnt 0x0
	v_add_nc_u64_e32 v[8:9], v[4:5], v[2:3]
	s_and_saveexec_b32 s6, s0
	s_cbranch_execz .LBB8_8
; %bb.7:
	v_mov_b64_e32 v[2:3], 0x100000002
	v_mov_b32_e32 v0, s1
	global_store_b128 v[8:9], v[0:3], off offset:8
.LBB8_8:
	s_wait_xcnt 0x0
	s_or_b32 exec_lo, exec_lo, s6
	v_lshlrev_b64_e32 v[2:3], 12, v[10:11]
	s_mov_b32 s8, 0
	v_dual_lshlrev_b32 v0, 6, v29 :: v_dual_mov_b32 v10, 33
	s_mov_b32 s10, s8
	s_mov_b32 s11, s8
	s_mov_b32 s9, s8
	s_delay_alu instid0(VALU_DEP_2)
	v_add_nc_u64_e32 v[6:7], v[6:7], v[2:3]
	v_mov_b64_e32 v[16:17], s[10:11]
	v_mov_b64_e32 v[14:15], s[8:9]
	v_dual_mov_b32 v11, v1 :: v_dual_mov_b32 v12, v1
	v_mov_b32_e32 v13, v1
	v_readfirstlane_b32 s6, v6
	v_readfirstlane_b32 s7, v7
	s_clause 0x3
	global_store_b128 v0, v[10:13], s[6:7]
	global_store_b128 v0, v[14:17], s[6:7] offset:16
	global_store_b128 v0, v[14:17], s[6:7] offset:32
	;; [unrolled: 1-line block ×3, first 2 shown]
	s_wait_xcnt 0x0
	s_and_saveexec_b32 s1, s0
	s_cbranch_execz .LBB8_16
; %bb.9:
	v_dual_mov_b32 v12, 0 :: v_dual_mov_b32 v15, s5
	s_mov_b32 s6, exec_lo
	s_clause 0x1
	global_load_b64 v[16:17], v12, s[2:3] offset:32 scope:SCOPE_SYS
	global_load_b64 v[2:3], v12, s[2:3] offset:40
	s_wait_loadcnt 0x0
	v_dual_mov_b32 v14, s4 :: v_dual_bitop2_b32 v3, s5, v3 bitop3:0x40
	v_and_b32_e32 v2, s4, v2
	s_delay_alu instid0(VALU_DEP_1) | instskip(NEXT) | instid1(VALU_DEP_1)
	v_mul_u64_e32 v[2:3], 24, v[2:3]
	v_add_nc_u64_e32 v[10:11], v[4:5], v[2:3]
	global_store_b64 v[10:11], v[16:17], off
	global_wb scope:SCOPE_SYS
	s_wait_storecnt 0x0
	s_wait_xcnt 0x0
	global_atomic_cmpswap_b64 v[4:5], v12, v[14:17], s[2:3] offset:32 th:TH_ATOMIC_RETURN scope:SCOPE_SYS
	s_wait_loadcnt 0x0
	v_cmpx_ne_u64_e64 v[4:5], v[16:17]
	s_cbranch_execz .LBB8_12
; %bb.10:
	s_mov_b32 s7, 0
.LBB8_11:                               ; =>This Inner Loop Header: Depth=1
	v_dual_mov_b32 v2, s4 :: v_dual_mov_b32 v3, s5
	s_sleep 1
	global_store_b64 v[10:11], v[4:5], off
	global_wb scope:SCOPE_SYS
	s_wait_storecnt 0x0
	s_wait_xcnt 0x0
	global_atomic_cmpswap_b64 v[2:3], v12, v[2:5], s[2:3] offset:32 th:TH_ATOMIC_RETURN scope:SCOPE_SYS
	s_wait_loadcnt 0x0
	v_cmp_eq_u64_e32 vcc_lo, v[2:3], v[4:5]
	v_mov_b64_e32 v[4:5], v[2:3]
	s_or_b32 s7, vcc_lo, s7
	s_delay_alu instid0(SALU_CYCLE_1)
	s_and_not1_b32 exec_lo, exec_lo, s7
	s_cbranch_execnz .LBB8_11
.LBB8_12:
	s_or_b32 exec_lo, exec_lo, s6
	v_mov_b32_e32 v5, 0
	s_mov_b32 s7, exec_lo
	s_mov_b32 s6, exec_lo
	v_mbcnt_lo_u32_b32 v4, s7, 0
	global_load_b64 v[2:3], v5, s[2:3] offset:16
	s_wait_xcnt 0x0
	v_cmpx_eq_u32_e32 0, v4
	s_cbranch_execz .LBB8_14
; %bb.13:
	s_bcnt1_i32_b32 s7, s7
	s_delay_alu instid0(SALU_CYCLE_1)
	v_mov_b32_e32 v4, s7
	global_wb scope:SCOPE_SYS
	s_wait_loadcnt 0x0
	s_wait_storecnt 0x0
	global_atomic_add_u64 v[2:3], v[4:5], off offset:8 scope:SCOPE_SYS
.LBB8_14:
	s_wait_xcnt 0x0
	s_or_b32 exec_lo, exec_lo, s6
	s_wait_loadcnt 0x0
	global_load_b64 v[4:5], v[2:3], off offset:16
	s_wait_loadcnt 0x0
	v_cmp_eq_u64_e32 vcc_lo, 0, v[4:5]
	s_cbranch_vccnz .LBB8_16
; %bb.15:
	global_load_b32 v2, v[2:3], off offset:24
	s_wait_xcnt 0x0
	v_mov_b32_e32 v3, 0
	s_wait_loadcnt 0x0
	v_readfirstlane_b32 s6, v2
	global_wb scope:SCOPE_SYS
	s_wait_storecnt 0x0
	global_store_b64 v[4:5], v[2:3], off scope:SCOPE_SYS
	s_and_b32 m0, s6, 0xffffff
	s_sendmsg sendmsg(MSG_INTERRUPT)
.LBB8_16:
	s_wait_xcnt 0x0
	s_or_b32 exec_lo, exec_lo, s1
	v_add_nc_u64_e32 v[2:3], v[6:7], v[0:1]
	s_branch .LBB8_20
.LBB8_17:                               ;   in Loop: Header=BB8_20 Depth=1
	s_wait_xcnt 0x0
	s_or_b32 exec_lo, exec_lo, s1
	s_delay_alu instid0(VALU_DEP_1)
	v_readfirstlane_b32 s1, v1
	s_cmp_eq_u32 s1, 0
	s_cbranch_scc1 .LBB8_19
; %bb.18:                               ;   in Loop: Header=BB8_20 Depth=1
	s_sleep 1
	s_cbranch_execnz .LBB8_20
	s_branch .LBB8_22
.LBB8_19:
	s_branch .LBB8_22
.LBB8_20:                               ; =>This Inner Loop Header: Depth=1
	v_mov_b32_e32 v1, 1
	s_and_saveexec_b32 s1, s0
	s_cbranch_execz .LBB8_17
; %bb.21:                               ;   in Loop: Header=BB8_20 Depth=1
	global_load_b32 v1, v[8:9], off offset:20 scope:SCOPE_SYS
	s_wait_loadcnt 0x0
	global_inv scope:SCOPE_SYS
	v_and_b32_e32 v1, 1, v1
	s_branch .LBB8_17
.LBB8_22:
	global_load_b64 v[6:7], v[2:3], off
	s_wait_xcnt 0x0
	s_and_saveexec_b32 s6, s0
	s_cbranch_execz .LBB8_26
; %bb.23:
	v_mov_b32_e32 v1, 0
	s_clause 0x2
	global_load_b64 v[2:3], v1, s[2:3] offset:40
	global_load_b64 v[12:13], v1, s[2:3] offset:24 scope:SCOPE_SYS
	global_load_b64 v[4:5], v1, s[2:3]
	s_wait_loadcnt 0x2
	v_readfirstlane_b32 s8, v2
	v_readfirstlane_b32 s9, v3
	s_add_nc_u64 s[0:1], s[8:9], 1
	s_delay_alu instid0(SALU_CYCLE_1) | instskip(NEXT) | instid1(SALU_CYCLE_1)
	s_add_nc_u64 s[4:5], s[0:1], s[4:5]
	s_cmp_eq_u64 s[4:5], 0
	s_cselect_b32 s1, s1, s5
	s_cselect_b32 s0, s0, s4
	v_mov_b32_e32 v11, s1
	s_and_b64 s[4:5], s[0:1], s[8:9]
	v_mov_b32_e32 v10, s0
	s_mul_u64 s[4:5], s[4:5], 24
	s_wait_loadcnt 0x0
	v_add_nc_u64_e32 v[8:9], s[4:5], v[4:5]
	global_store_b64 v[8:9], v[12:13], off
	global_wb scope:SCOPE_SYS
	s_wait_storecnt 0x0
	s_wait_xcnt 0x0
	global_atomic_cmpswap_b64 v[4:5], v1, v[10:13], s[2:3] offset:24 th:TH_ATOMIC_RETURN scope:SCOPE_SYS
	s_wait_loadcnt 0x0
	v_cmp_ne_u64_e32 vcc_lo, v[4:5], v[12:13]
	s_and_b32 exec_lo, exec_lo, vcc_lo
	s_cbranch_execz .LBB8_26
; %bb.24:
	s_mov_b32 s4, 0
.LBB8_25:                               ; =>This Inner Loop Header: Depth=1
	v_dual_mov_b32 v2, s0 :: v_dual_mov_b32 v3, s1
	s_sleep 1
	global_store_b64 v[8:9], v[4:5], off
	global_wb scope:SCOPE_SYS
	s_wait_storecnt 0x0
	s_wait_xcnt 0x0
	global_atomic_cmpswap_b64 v[2:3], v1, v[2:5], s[2:3] offset:24 th:TH_ATOMIC_RETURN scope:SCOPE_SYS
	s_wait_loadcnt 0x0
	v_cmp_eq_u64_e32 vcc_lo, v[2:3], v[4:5]
	v_mov_b64_e32 v[4:5], v[2:3]
	s_or_b32 s4, vcc_lo, s4
	s_delay_alu instid0(SALU_CYCLE_1)
	s_and_not1_b32 exec_lo, exec_lo, s4
	s_cbranch_execnz .LBB8_25
.LBB8_26:
	s_or_b32 exec_lo, exec_lo, s6
	s_get_pc_i64 s[4:5]
	s_add_nc_u64 s[4:5], s[4:5], .str.7@rel64+4
	s_delay_alu instid0(SALU_CYCLE_1) | instskip(SKIP_1) | instid1(SALU_CYCLE_1)
	s_cmp_lg_u64 s[4:5], 0
	s_cselect_b32 s18, -1, 0
	s_and_b32 vcc_lo, exec_lo, s18
	s_cbranch_vccz .LBB8_105
; %bb.27:
	v_mov_b64_e32 v[10:11], 0x100000002
	s_wait_loadcnt 0x0
	v_dual_mov_b32 v9, 0 :: v_dual_bitop2_b32 v28, 2, v6 bitop3:0x40
	v_dual_mov_b32 v3, v7 :: v_dual_bitop2_b32 v2, -3, v6 bitop3:0x40
	s_mov_b64 s[8:9], 6
	s_get_pc_i64 s[6:7]
	s_add_nc_u64 s[6:7], s[6:7], .str.7@rel64+4
	s_branch .LBB8_29
.LBB8_28:                               ;   in Loop: Header=BB8_29 Depth=1
	s_or_b32 exec_lo, exec_lo, s14
	s_sub_nc_u64 s[8:9], s[8:9], s[10:11]
	s_add_nc_u64 s[6:7], s[6:7], s[10:11]
	s_cmp_lg_u64 s[8:9], 0
	s_cbranch_scc0 .LBB8_104
.LBB8_29:                               ; =>This Loop Header: Depth=1
                                        ;     Child Loop BB8_32 Depth 2
                                        ;     Child Loop BB8_39 Depth 2
	;; [unrolled: 1-line block ×11, first 2 shown]
	v_min_u64 v[4:5], s[8:9], 56
	v_cmp_gt_u64_e64 s0, s[8:9], 7
	s_and_b32 vcc_lo, exec_lo, s0
	v_readfirstlane_b32 s10, v4
	v_readfirstlane_b32 s11, v5
	s_cbranch_vccnz .LBB8_34
; %bb.30:                               ;   in Loop: Header=BB8_29 Depth=1
	v_mov_b64_e32 v[4:5], 0
	s_cmp_eq_u64 s[8:9], 0
	s_cbranch_scc1 .LBB8_33
; %bb.31:                               ;   in Loop: Header=BB8_29 Depth=1
	s_mov_b64 s[0:1], 0
	s_mov_b64 s[12:13], 0
.LBB8_32:                               ;   Parent Loop BB8_29 Depth=1
                                        ; =>  This Inner Loop Header: Depth=2
	s_wait_xcnt 0x0
	s_add_nc_u64 s[14:15], s[6:7], s[12:13]
	s_add_nc_u64 s[12:13], s[12:13], 1
	global_load_u8 v1, v9, s[14:15]
	s_cmp_lg_u32 s10, s12
	s_wait_loadcnt 0x0
	v_and_b32_e32 v8, 0xffff, v1
	s_delay_alu instid0(VALU_DEP_1) | instskip(SKIP_1) | instid1(VALU_DEP_1)
	v_lshlrev_b64_e32 v[12:13], s0, v[8:9]
	s_add_nc_u64 s[0:1], s[0:1], 8
	v_or_b32_e32 v4, v12, v4
	s_delay_alu instid0(VALU_DEP_2)
	v_or_b32_e32 v5, v13, v5
	s_cbranch_scc1 .LBB8_32
.LBB8_33:                               ;   in Loop: Header=BB8_29 Depth=1
	s_mov_b64 s[12:13], s[6:7]
	s_mov_b32 s16, 0
	s_cbranch_execz .LBB8_35
	s_branch .LBB8_36
.LBB8_34:                               ;   in Loop: Header=BB8_29 Depth=1
	s_add_nc_u64 s[12:13], s[6:7], 8
	s_mov_b32 s16, 0
.LBB8_35:                               ;   in Loop: Header=BB8_29 Depth=1
	global_load_b64 v[4:5], v9, s[6:7]
	s_add_co_i32 s16, s10, -8
.LBB8_36:                               ;   in Loop: Header=BB8_29 Depth=1
	s_delay_alu instid0(SALU_CYCLE_1)
	s_cmp_gt_u32 s16, 7
	s_cbranch_scc1 .LBB8_41
; %bb.37:                               ;   in Loop: Header=BB8_29 Depth=1
	v_mov_b64_e32 v[12:13], 0
	s_cmp_eq_u32 s16, 0
	s_cbranch_scc1 .LBB8_40
; %bb.38:                               ;   in Loop: Header=BB8_29 Depth=1
	s_mov_b64 s[0:1], 0
	s_wait_xcnt 0x0
	s_mov_b64 s[14:15], 0
.LBB8_39:                               ;   Parent Loop BB8_29 Depth=1
                                        ; =>  This Inner Loop Header: Depth=2
	s_wait_xcnt 0x0
	s_add_nc_u64 s[20:21], s[12:13], s[14:15]
	s_add_nc_u64 s[14:15], s[14:15], 1
	global_load_u8 v1, v9, s[20:21]
	s_cmp_lg_u32 s16, s14
	s_wait_loadcnt 0x0
	v_and_b32_e32 v8, 0xffff, v1
	s_delay_alu instid0(VALU_DEP_1) | instskip(SKIP_1) | instid1(VALU_DEP_1)
	v_lshlrev_b64_e32 v[14:15], s0, v[8:9]
	s_add_nc_u64 s[0:1], s[0:1], 8
	v_or_b32_e32 v12, v14, v12
	s_delay_alu instid0(VALU_DEP_2)
	v_or_b32_e32 v13, v15, v13
	s_cbranch_scc1 .LBB8_39
.LBB8_40:                               ;   in Loop: Header=BB8_29 Depth=1
	s_wait_xcnt 0x0
	s_mov_b64 s[0:1], s[12:13]
	s_mov_b32 s17, 0
	s_cbranch_execz .LBB8_42
	s_branch .LBB8_43
.LBB8_41:                               ;   in Loop: Header=BB8_29 Depth=1
	s_add_nc_u64 s[0:1], s[12:13], 8
	s_wait_xcnt 0x0
                                        ; implicit-def: $vgpr12_vgpr13
	s_mov_b32 s17, 0
.LBB8_42:                               ;   in Loop: Header=BB8_29 Depth=1
	global_load_b64 v[12:13], v9, s[12:13]
	s_add_co_i32 s17, s16, -8
.LBB8_43:                               ;   in Loop: Header=BB8_29 Depth=1
	s_delay_alu instid0(SALU_CYCLE_1)
	s_cmp_gt_u32 s17, 7
	s_cbranch_scc1 .LBB8_48
; %bb.44:                               ;   in Loop: Header=BB8_29 Depth=1
	v_mov_b64_e32 v[14:15], 0
	s_cmp_eq_u32 s17, 0
	s_cbranch_scc1 .LBB8_47
; %bb.45:                               ;   in Loop: Header=BB8_29 Depth=1
	s_wait_xcnt 0x0
	s_mov_b64 s[12:13], 0
	s_mov_b64 s[14:15], 0
.LBB8_46:                               ;   Parent Loop BB8_29 Depth=1
                                        ; =>  This Inner Loop Header: Depth=2
	s_wait_xcnt 0x0
	s_add_nc_u64 s[20:21], s[0:1], s[14:15]
	s_add_nc_u64 s[14:15], s[14:15], 1
	global_load_u8 v1, v9, s[20:21]
	s_cmp_lg_u32 s17, s14
	s_wait_loadcnt 0x0
	v_and_b32_e32 v8, 0xffff, v1
	s_delay_alu instid0(VALU_DEP_1) | instskip(SKIP_1) | instid1(VALU_DEP_1)
	v_lshlrev_b64_e32 v[16:17], s12, v[8:9]
	s_add_nc_u64 s[12:13], s[12:13], 8
	v_or_b32_e32 v14, v16, v14
	s_delay_alu instid0(VALU_DEP_2)
	v_or_b32_e32 v15, v17, v15
	s_cbranch_scc1 .LBB8_46
.LBB8_47:                               ;   in Loop: Header=BB8_29 Depth=1
	s_wait_xcnt 0x0
	s_mov_b64 s[12:13], s[0:1]
	s_mov_b32 s16, 0
	s_cbranch_execz .LBB8_49
	s_branch .LBB8_50
.LBB8_48:                               ;   in Loop: Header=BB8_29 Depth=1
	s_wait_xcnt 0x0
	s_add_nc_u64 s[12:13], s[0:1], 8
	s_mov_b32 s16, 0
.LBB8_49:                               ;   in Loop: Header=BB8_29 Depth=1
	global_load_b64 v[14:15], v9, s[0:1]
	s_add_co_i32 s16, s17, -8
.LBB8_50:                               ;   in Loop: Header=BB8_29 Depth=1
	s_delay_alu instid0(SALU_CYCLE_1)
	s_cmp_gt_u32 s16, 7
	s_cbranch_scc1 .LBB8_55
; %bb.51:                               ;   in Loop: Header=BB8_29 Depth=1
	v_mov_b64_e32 v[16:17], 0
	s_cmp_eq_u32 s16, 0
	s_cbranch_scc1 .LBB8_54
; %bb.52:                               ;   in Loop: Header=BB8_29 Depth=1
	s_wait_xcnt 0x0
	s_mov_b64 s[0:1], 0
	s_mov_b64 s[14:15], 0
.LBB8_53:                               ;   Parent Loop BB8_29 Depth=1
                                        ; =>  This Inner Loop Header: Depth=2
	s_wait_xcnt 0x0
	s_add_nc_u64 s[20:21], s[12:13], s[14:15]
	s_add_nc_u64 s[14:15], s[14:15], 1
	global_load_u8 v1, v9, s[20:21]
	s_cmp_lg_u32 s16, s14
	s_wait_loadcnt 0x0
	v_and_b32_e32 v8, 0xffff, v1
	s_delay_alu instid0(VALU_DEP_1) | instskip(SKIP_1) | instid1(VALU_DEP_1)
	v_lshlrev_b64_e32 v[18:19], s0, v[8:9]
	s_add_nc_u64 s[0:1], s[0:1], 8
	v_or_b32_e32 v16, v18, v16
	s_delay_alu instid0(VALU_DEP_2)
	v_or_b32_e32 v17, v19, v17
	s_cbranch_scc1 .LBB8_53
.LBB8_54:                               ;   in Loop: Header=BB8_29 Depth=1
	s_wait_xcnt 0x0
	s_mov_b64 s[0:1], s[12:13]
	s_mov_b32 s17, 0
	s_cbranch_execz .LBB8_56
	s_branch .LBB8_57
.LBB8_55:                               ;   in Loop: Header=BB8_29 Depth=1
	s_wait_xcnt 0x0
	s_add_nc_u64 s[0:1], s[12:13], 8
                                        ; implicit-def: $vgpr16_vgpr17
	s_mov_b32 s17, 0
.LBB8_56:                               ;   in Loop: Header=BB8_29 Depth=1
	global_load_b64 v[16:17], v9, s[12:13]
	s_add_co_i32 s17, s16, -8
.LBB8_57:                               ;   in Loop: Header=BB8_29 Depth=1
	s_delay_alu instid0(SALU_CYCLE_1)
	s_cmp_gt_u32 s17, 7
	s_cbranch_scc1 .LBB8_62
; %bb.58:                               ;   in Loop: Header=BB8_29 Depth=1
	v_mov_b64_e32 v[18:19], 0
	s_cmp_eq_u32 s17, 0
	s_cbranch_scc1 .LBB8_61
; %bb.59:                               ;   in Loop: Header=BB8_29 Depth=1
	s_wait_xcnt 0x0
	s_mov_b64 s[12:13], 0
	s_mov_b64 s[14:15], 0
.LBB8_60:                               ;   Parent Loop BB8_29 Depth=1
                                        ; =>  This Inner Loop Header: Depth=2
	s_wait_xcnt 0x0
	s_add_nc_u64 s[20:21], s[0:1], s[14:15]
	s_add_nc_u64 s[14:15], s[14:15], 1
	global_load_u8 v1, v9, s[20:21]
	s_cmp_lg_u32 s17, s14
	s_wait_loadcnt 0x0
	v_and_b32_e32 v8, 0xffff, v1
	s_delay_alu instid0(VALU_DEP_1) | instskip(SKIP_1) | instid1(VALU_DEP_1)
	v_lshlrev_b64_e32 v[20:21], s12, v[8:9]
	s_add_nc_u64 s[12:13], s[12:13], 8
	v_or_b32_e32 v18, v20, v18
	s_delay_alu instid0(VALU_DEP_2)
	v_or_b32_e32 v19, v21, v19
	s_cbranch_scc1 .LBB8_60
.LBB8_61:                               ;   in Loop: Header=BB8_29 Depth=1
	s_wait_xcnt 0x0
	s_mov_b64 s[12:13], s[0:1]
	s_mov_b32 s16, 0
	s_cbranch_execz .LBB8_63
	s_branch .LBB8_64
.LBB8_62:                               ;   in Loop: Header=BB8_29 Depth=1
	s_wait_xcnt 0x0
	s_add_nc_u64 s[12:13], s[0:1], 8
	s_mov_b32 s16, 0
.LBB8_63:                               ;   in Loop: Header=BB8_29 Depth=1
	global_load_b64 v[18:19], v9, s[0:1]
	s_add_co_i32 s16, s17, -8
.LBB8_64:                               ;   in Loop: Header=BB8_29 Depth=1
	s_delay_alu instid0(SALU_CYCLE_1)
	s_cmp_gt_u32 s16, 7
	s_cbranch_scc1 .LBB8_69
; %bb.65:                               ;   in Loop: Header=BB8_29 Depth=1
	v_mov_b64_e32 v[20:21], 0
	s_cmp_eq_u32 s16, 0
	s_cbranch_scc1 .LBB8_68
; %bb.66:                               ;   in Loop: Header=BB8_29 Depth=1
	s_wait_xcnt 0x0
	s_mov_b64 s[0:1], 0
	s_mov_b64 s[14:15], 0
.LBB8_67:                               ;   Parent Loop BB8_29 Depth=1
                                        ; =>  This Inner Loop Header: Depth=2
	s_wait_xcnt 0x0
	s_add_nc_u64 s[20:21], s[12:13], s[14:15]
	s_add_nc_u64 s[14:15], s[14:15], 1
	global_load_u8 v1, v9, s[20:21]
	s_cmp_lg_u32 s16, s14
	s_wait_loadcnt 0x0
	v_and_b32_e32 v8, 0xffff, v1
	s_delay_alu instid0(VALU_DEP_1) | instskip(SKIP_1) | instid1(VALU_DEP_1)
	v_lshlrev_b64_e32 v[22:23], s0, v[8:9]
	s_add_nc_u64 s[0:1], s[0:1], 8
	v_or_b32_e32 v20, v22, v20
	s_delay_alu instid0(VALU_DEP_2)
	v_or_b32_e32 v21, v23, v21
	s_cbranch_scc1 .LBB8_67
.LBB8_68:                               ;   in Loop: Header=BB8_29 Depth=1
	s_wait_xcnt 0x0
	s_mov_b64 s[0:1], s[12:13]
	s_mov_b32 s17, 0
	s_cbranch_execz .LBB8_70
	s_branch .LBB8_71
.LBB8_69:                               ;   in Loop: Header=BB8_29 Depth=1
	s_wait_xcnt 0x0
	s_add_nc_u64 s[0:1], s[12:13], 8
                                        ; implicit-def: $vgpr20_vgpr21
	s_mov_b32 s17, 0
.LBB8_70:                               ;   in Loop: Header=BB8_29 Depth=1
	global_load_b64 v[20:21], v9, s[12:13]
	s_add_co_i32 s17, s16, -8
.LBB8_71:                               ;   in Loop: Header=BB8_29 Depth=1
	s_delay_alu instid0(SALU_CYCLE_1)
	s_cmp_gt_u32 s17, 7
	s_cbranch_scc1 .LBB8_76
; %bb.72:                               ;   in Loop: Header=BB8_29 Depth=1
	v_mov_b64_e32 v[22:23], 0
	s_cmp_eq_u32 s17, 0
	s_cbranch_scc1 .LBB8_75
; %bb.73:                               ;   in Loop: Header=BB8_29 Depth=1
	s_wait_xcnt 0x0
	s_mov_b64 s[12:13], 0
	s_mov_b64 s[14:15], s[0:1]
.LBB8_74:                               ;   Parent Loop BB8_29 Depth=1
                                        ; =>  This Inner Loop Header: Depth=2
	global_load_u8 v1, v9, s[14:15]
	s_add_co_i32 s17, s17, -1
	s_wait_xcnt 0x0
	s_add_nc_u64 s[14:15], s[14:15], 1
	s_cmp_lg_u32 s17, 0
	s_wait_loadcnt 0x0
	v_and_b32_e32 v8, 0xffff, v1
	s_delay_alu instid0(VALU_DEP_1) | instskip(SKIP_1) | instid1(VALU_DEP_1)
	v_lshlrev_b64_e32 v[24:25], s12, v[8:9]
	s_add_nc_u64 s[12:13], s[12:13], 8
	v_or_b32_e32 v22, v24, v22
	s_delay_alu instid0(VALU_DEP_2)
	v_or_b32_e32 v23, v25, v23
	s_cbranch_scc1 .LBB8_74
.LBB8_75:                               ;   in Loop: Header=BB8_29 Depth=1
	s_wait_xcnt 0x0
	s_cbranch_execz .LBB8_77
	s_branch .LBB8_78
.LBB8_76:                               ;   in Loop: Header=BB8_29 Depth=1
	s_wait_xcnt 0x0
.LBB8_77:                               ;   in Loop: Header=BB8_29 Depth=1
	global_load_b64 v[22:23], v9, s[0:1]
.LBB8_78:                               ;   in Loop: Header=BB8_29 Depth=1
	s_wait_xcnt 0x0
	v_readfirstlane_b32 s0, v29
	v_mov_b64_e32 v[30:31], 0
	s_delay_alu instid0(VALU_DEP_2)
	v_cmp_eq_u32_e64 s0, s0, v29
	s_and_saveexec_b32 s1, s0
	s_cbranch_execz .LBB8_84
; %bb.79:                               ;   in Loop: Header=BB8_29 Depth=1
	global_load_b64 v[26:27], v9, s[2:3] offset:24 scope:SCOPE_SYS
	s_wait_loadcnt 0x0
	global_inv scope:SCOPE_SYS
	s_clause 0x1
	global_load_b64 v[24:25], v9, s[2:3] offset:40
	global_load_b64 v[30:31], v9, s[2:3]
	s_mov_b32 s12, exec_lo
	s_wait_loadcnt 0x1
	v_and_b32_e32 v24, v24, v26
	v_and_b32_e32 v25, v25, v27
	s_delay_alu instid0(VALU_DEP_1) | instskip(SKIP_1) | instid1(VALU_DEP_1)
	v_mul_u64_e32 v[24:25], 24, v[24:25]
	s_wait_loadcnt 0x0
	v_add_nc_u64_e32 v[24:25], v[30:31], v[24:25]
	global_load_b64 v[24:25], v[24:25], off scope:SCOPE_SYS
	s_wait_xcnt 0x0
	s_wait_loadcnt 0x0
	global_atomic_cmpswap_b64 v[30:31], v9, v[24:27], s[2:3] offset:24 th:TH_ATOMIC_RETURN scope:SCOPE_SYS
	s_wait_loadcnt 0x0
	global_inv scope:SCOPE_SYS
	s_wait_xcnt 0x0
	v_cmpx_ne_u64_e64 v[30:31], v[26:27]
	s_cbranch_execz .LBB8_83
; %bb.80:                               ;   in Loop: Header=BB8_29 Depth=1
	s_mov_b32 s13, 0
.LBB8_81:                               ;   Parent Loop BB8_29 Depth=1
                                        ; =>  This Inner Loop Header: Depth=2
	s_sleep 1
	s_clause 0x1
	global_load_b64 v[24:25], v9, s[2:3] offset:40
	global_load_b64 v[32:33], v9, s[2:3]
	v_mov_b64_e32 v[26:27], v[30:31]
	s_wait_loadcnt 0x1
	s_delay_alu instid0(VALU_DEP_1) | instskip(SKIP_1) | instid1(VALU_DEP_1)
	v_and_b32_e32 v1, v24, v26
	s_wait_loadcnt 0x0
	v_mad_nc_u64_u32 v[30:31], v1, 24, v[32:33]
	s_delay_alu instid0(VALU_DEP_3) | instskip(NEXT) | instid1(VALU_DEP_1)
	v_and_b32_e32 v1, v25, v27
	v_mad_u32 v31, v1, 24, v31
	global_load_b64 v[24:25], v[30:31], off scope:SCOPE_SYS
	s_wait_xcnt 0x0
	s_wait_loadcnt 0x0
	global_atomic_cmpswap_b64 v[30:31], v9, v[24:27], s[2:3] offset:24 th:TH_ATOMIC_RETURN scope:SCOPE_SYS
	s_wait_loadcnt 0x0
	global_inv scope:SCOPE_SYS
	v_cmp_eq_u64_e32 vcc_lo, v[30:31], v[26:27]
	s_or_b32 s13, vcc_lo, s13
	s_wait_xcnt 0x0
	s_and_not1_b32 exec_lo, exec_lo, s13
	s_cbranch_execnz .LBB8_81
; %bb.82:                               ;   in Loop: Header=BB8_29 Depth=1
	s_or_b32 exec_lo, exec_lo, s13
.LBB8_83:                               ;   in Loop: Header=BB8_29 Depth=1
	s_delay_alu instid0(SALU_CYCLE_1)
	s_or_b32 exec_lo, exec_lo, s12
.LBB8_84:                               ;   in Loop: Header=BB8_29 Depth=1
	s_delay_alu instid0(SALU_CYCLE_1)
	s_or_b32 exec_lo, exec_lo, s1
	s_clause 0x1
	global_load_b64 v[32:33], v9, s[2:3] offset:40
	global_load_b128 v[24:27], v9, s[2:3]
	v_readfirstlane_b32 s12, v30
	v_readfirstlane_b32 s13, v31
	s_mov_b32 s1, exec_lo
	s_wait_loadcnt 0x1
	v_and_b32_e32 v32, s12, v32
	v_and_b32_e32 v33, s13, v33
	s_delay_alu instid0(VALU_DEP_1) | instskip(SKIP_1) | instid1(VALU_DEP_1)
	v_mul_u64_e32 v[30:31], 24, v[32:33]
	s_wait_loadcnt 0x0
	v_add_nc_u64_e32 v[30:31], v[24:25], v[30:31]
	s_wait_xcnt 0x0
	s_and_saveexec_b32 s14, s0
	s_cbranch_execz .LBB8_86
; %bb.85:                               ;   in Loop: Header=BB8_29 Depth=1
	v_mov_b32_e32 v8, s1
	global_store_b128 v[30:31], v[8:11], off offset:8
.LBB8_86:                               ;   in Loop: Header=BB8_29 Depth=1
	s_wait_xcnt 0x0
	s_or_b32 exec_lo, exec_lo, s14
	v_cmp_lt_u64_e64 vcc_lo, s[8:9], 57
	v_lshlrev_b64_e32 v[32:33], 12, v[32:33]
	v_and_b32_e32 v2, 0xffffff1f, v2
	s_lshl_b32 s1, s10, 2
	s_delay_alu instid0(SALU_CYCLE_1) | instskip(SKIP_1) | instid1(VALU_DEP_3)
	s_add_co_i32 s1, s1, 28
	v_cndmask_b32_e32 v1, 0, v28, vcc_lo
	v_add_nc_u64_e32 v[26:27], v[26:27], v[32:33]
	s_delay_alu instid0(VALU_DEP_2) | instskip(NEXT) | instid1(VALU_DEP_2)
	v_or_b32_e32 v1, v2, v1
	v_readfirstlane_b32 s14, v26
	s_delay_alu instid0(VALU_DEP_3) | instskip(NEXT) | instid1(VALU_DEP_3)
	v_readfirstlane_b32 s15, v27
	v_and_or_b32 v2, 0x1e0, s1, v1
	s_clause 0x3
	global_store_b128 v0, v[2:5], s[14:15]
	global_store_b128 v0, v[12:15], s[14:15] offset:16
	global_store_b128 v0, v[16:19], s[14:15] offset:32
	;; [unrolled: 1-line block ×3, first 2 shown]
	s_wait_xcnt 0x0
	s_and_saveexec_b32 s1, s0
	s_cbranch_execz .LBB8_94
; %bb.87:                               ;   in Loop: Header=BB8_29 Depth=1
	s_clause 0x1
	global_load_b64 v[16:17], v9, s[2:3] offset:32 scope:SCOPE_SYS
	global_load_b64 v[2:3], v9, s[2:3] offset:40
	s_mov_b32 s14, exec_lo
	v_dual_mov_b32 v14, s12 :: v_dual_mov_b32 v15, s13
	s_wait_loadcnt 0x0
	v_and_b32_e32 v3, s13, v3
	v_and_b32_e32 v2, s12, v2
	s_delay_alu instid0(VALU_DEP_1) | instskip(NEXT) | instid1(VALU_DEP_1)
	v_mul_u64_e32 v[2:3], 24, v[2:3]
	v_add_nc_u64_e32 v[12:13], v[24:25], v[2:3]
	global_store_b64 v[12:13], v[16:17], off
	global_wb scope:SCOPE_SYS
	s_wait_storecnt 0x0
	s_wait_xcnt 0x0
	global_atomic_cmpswap_b64 v[4:5], v9, v[14:17], s[2:3] offset:32 th:TH_ATOMIC_RETURN scope:SCOPE_SYS
	s_wait_loadcnt 0x0
	v_cmpx_ne_u64_e64 v[4:5], v[16:17]
	s_cbranch_execz .LBB8_90
; %bb.88:                               ;   in Loop: Header=BB8_29 Depth=1
	s_mov_b32 s15, 0
.LBB8_89:                               ;   Parent Loop BB8_29 Depth=1
                                        ; =>  This Inner Loop Header: Depth=2
	v_dual_mov_b32 v2, s12 :: v_dual_mov_b32 v3, s13
	s_sleep 1
	global_store_b64 v[12:13], v[4:5], off
	global_wb scope:SCOPE_SYS
	s_wait_storecnt 0x0
	s_wait_xcnt 0x0
	global_atomic_cmpswap_b64 v[2:3], v9, v[2:5], s[2:3] offset:32 th:TH_ATOMIC_RETURN scope:SCOPE_SYS
	s_wait_loadcnt 0x0
	v_cmp_eq_u64_e32 vcc_lo, v[2:3], v[4:5]
	v_mov_b64_e32 v[4:5], v[2:3]
	s_or_b32 s15, vcc_lo, s15
	s_delay_alu instid0(SALU_CYCLE_1)
	s_and_not1_b32 exec_lo, exec_lo, s15
	s_cbranch_execnz .LBB8_89
.LBB8_90:                               ;   in Loop: Header=BB8_29 Depth=1
	s_or_b32 exec_lo, exec_lo, s14
	global_load_b64 v[2:3], v9, s[2:3] offset:16
	s_mov_b32 s15, exec_lo
	s_mov_b32 s14, exec_lo
	v_mbcnt_lo_u32_b32 v1, s15, 0
	s_wait_xcnt 0x0
	s_delay_alu instid0(VALU_DEP_1)
	v_cmpx_eq_u32_e32 0, v1
	s_cbranch_execz .LBB8_92
; %bb.91:                               ;   in Loop: Header=BB8_29 Depth=1
	s_bcnt1_i32_b32 s15, s15
	s_delay_alu instid0(SALU_CYCLE_1)
	v_mov_b32_e32 v8, s15
	global_wb scope:SCOPE_SYS
	s_wait_loadcnt 0x0
	s_wait_storecnt 0x0
	global_atomic_add_u64 v[2:3], v[8:9], off offset:8 scope:SCOPE_SYS
.LBB8_92:                               ;   in Loop: Header=BB8_29 Depth=1
	s_wait_xcnt 0x0
	s_or_b32 exec_lo, exec_lo, s14
	s_wait_loadcnt 0x0
	global_load_b64 v[4:5], v[2:3], off offset:16
	s_wait_loadcnt 0x0
	v_cmp_eq_u64_e32 vcc_lo, 0, v[4:5]
	s_cbranch_vccnz .LBB8_94
; %bb.93:                               ;   in Loop: Header=BB8_29 Depth=1
	global_load_b32 v8, v[2:3], off offset:24
	s_wait_loadcnt 0x0
	v_readfirstlane_b32 s14, v8
	global_wb scope:SCOPE_SYS
	s_wait_storecnt 0x0
	s_wait_xcnt 0x0
	global_store_b64 v[4:5], v[8:9], off scope:SCOPE_SYS
	s_and_b32 m0, s14, 0xffffff
	s_sendmsg sendmsg(MSG_INTERRUPT)
.LBB8_94:                               ;   in Loop: Header=BB8_29 Depth=1
	s_wait_xcnt 0x0
	s_or_b32 exec_lo, exec_lo, s1
	v_mov_b32_e32 v1, v9
	s_delay_alu instid0(VALU_DEP_1)
	v_add_nc_u64_e32 v[2:3], v[26:27], v[0:1]
	s_branch .LBB8_98
.LBB8_95:                               ;   in Loop: Header=BB8_98 Depth=2
	s_wait_xcnt 0x0
	s_or_b32 exec_lo, exec_lo, s1
	s_delay_alu instid0(VALU_DEP_1)
	v_readfirstlane_b32 s1, v1
	s_cmp_eq_u32 s1, 0
	s_cbranch_scc1 .LBB8_97
; %bb.96:                               ;   in Loop: Header=BB8_98 Depth=2
	s_sleep 1
	s_cbranch_execnz .LBB8_98
	s_branch .LBB8_100
.LBB8_97:                               ;   in Loop: Header=BB8_29 Depth=1
	s_branch .LBB8_100
.LBB8_98:                               ;   Parent Loop BB8_29 Depth=1
                                        ; =>  This Inner Loop Header: Depth=2
	v_mov_b32_e32 v1, 1
	s_and_saveexec_b32 s1, s0
	s_cbranch_execz .LBB8_95
; %bb.99:                               ;   in Loop: Header=BB8_98 Depth=2
	global_load_b32 v1, v[30:31], off offset:20 scope:SCOPE_SYS
	s_wait_loadcnt 0x0
	global_inv scope:SCOPE_SYS
	v_and_b32_e32 v1, 1, v1
	s_branch .LBB8_95
.LBB8_100:                              ;   in Loop: Header=BB8_29 Depth=1
	global_load_b64 v[2:3], v[2:3], off
	s_wait_xcnt 0x0
	s_and_saveexec_b32 s14, s0
	s_cbranch_execz .LBB8_28
; %bb.101:                              ;   in Loop: Header=BB8_29 Depth=1
	s_clause 0x2
	global_load_b64 v[4:5], v9, s[2:3] offset:40
	global_load_b64 v[16:17], v9, s[2:3] offset:24 scope:SCOPE_SYS
	global_load_b64 v[12:13], v9, s[2:3]
	s_wait_loadcnt 0x2
	v_readfirstlane_b32 s16, v4
	v_readfirstlane_b32 s17, v5
	s_add_nc_u64 s[0:1], s[16:17], 1
	s_delay_alu instid0(SALU_CYCLE_1) | instskip(NEXT) | instid1(SALU_CYCLE_1)
	s_add_nc_u64 s[12:13], s[0:1], s[12:13]
	s_cmp_eq_u64 s[12:13], 0
	s_cselect_b32 s1, s1, s13
	s_cselect_b32 s0, s0, s12
	s_delay_alu instid0(SALU_CYCLE_1) | instskip(SKIP_1) | instid1(SALU_CYCLE_1)
	v_dual_mov_b32 v15, s1 :: v_dual_mov_b32 v14, s0
	s_and_b64 s[12:13], s[0:1], s[16:17]
	s_mul_u64 s[12:13], s[12:13], 24
	s_wait_loadcnt 0x0
	v_add_nc_u64_e32 v[4:5], s[12:13], v[12:13]
	global_store_b64 v[4:5], v[16:17], off
	global_wb scope:SCOPE_SYS
	s_wait_storecnt 0x0
	s_wait_xcnt 0x0
	global_atomic_cmpswap_b64 v[14:15], v9, v[14:17], s[2:3] offset:24 th:TH_ATOMIC_RETURN scope:SCOPE_SYS
	s_wait_loadcnt 0x0
	v_cmp_ne_u64_e32 vcc_lo, v[14:15], v[16:17]
	s_and_b32 exec_lo, exec_lo, vcc_lo
	s_cbranch_execz .LBB8_28
; %bb.102:                              ;   in Loop: Header=BB8_29 Depth=1
	s_mov_b32 s12, 0
.LBB8_103:                              ;   Parent Loop BB8_29 Depth=1
                                        ; =>  This Inner Loop Header: Depth=2
	v_dual_mov_b32 v12, s0 :: v_dual_mov_b32 v13, s1
	s_sleep 1
	global_store_b64 v[4:5], v[14:15], off
	global_wb scope:SCOPE_SYS
	s_wait_storecnt 0x0
	s_wait_xcnt 0x0
	global_atomic_cmpswap_b64 v[12:13], v9, v[12:15], s[2:3] offset:24 th:TH_ATOMIC_RETURN scope:SCOPE_SYS
	s_wait_loadcnt 0x0
	v_cmp_eq_u64_e32 vcc_lo, v[12:13], v[14:15]
	v_mov_b64_e32 v[14:15], v[12:13]
	s_or_b32 s12, vcc_lo, s12
	s_delay_alu instid0(SALU_CYCLE_1)
	s_and_not1_b32 exec_lo, exec_lo, s12
	s_cbranch_execnz .LBB8_103
	s_branch .LBB8_28
.LBB8_104:
	s_branch .LBB8_133
.LBB8_105:
                                        ; implicit-def: $vgpr2_vgpr3
	s_cbranch_execz .LBB8_133
; %bb.106:
	v_readfirstlane_b32 s0, v29
	v_mov_b64_e32 v[8:9], 0
	s_delay_alu instid0(VALU_DEP_2)
	v_cmp_eq_u32_e64 s0, s0, v29
	s_and_saveexec_b32 s1, s0
	s_cbranch_execz .LBB8_112
; %bb.107:
	v_mov_b32_e32 v1, 0
	s_mov_b32 s6, exec_lo
	global_load_b64 v[4:5], v1, s[2:3] offset:24 scope:SCOPE_SYS
	s_wait_loadcnt 0x0
	global_inv scope:SCOPE_SYS
	s_clause 0x1
	global_load_b64 v[2:3], v1, s[2:3] offset:40
	global_load_b64 v[8:9], v1, s[2:3]
	s_wait_loadcnt 0x1
	v_and_b32_e32 v2, v2, v4
	v_and_b32_e32 v3, v3, v5
	s_delay_alu instid0(VALU_DEP_1) | instskip(SKIP_1) | instid1(VALU_DEP_1)
	v_mul_u64_e32 v[2:3], 24, v[2:3]
	s_wait_loadcnt 0x0
	v_add_nc_u64_e32 v[2:3], v[8:9], v[2:3]
	global_load_b64 v[2:3], v[2:3], off scope:SCOPE_SYS
	s_wait_xcnt 0x0
	s_wait_loadcnt 0x0
	global_atomic_cmpswap_b64 v[8:9], v1, v[2:5], s[2:3] offset:24 th:TH_ATOMIC_RETURN scope:SCOPE_SYS
	s_wait_loadcnt 0x0
	global_inv scope:SCOPE_SYS
	s_wait_xcnt 0x0
	v_cmpx_ne_u64_e64 v[8:9], v[4:5]
	s_cbranch_execz .LBB8_111
; %bb.108:
	s_mov_b32 s7, 0
.LBB8_109:                              ; =>This Inner Loop Header: Depth=1
	s_sleep 1
	s_clause 0x1
	global_load_b64 v[2:3], v1, s[2:3] offset:40
	global_load_b64 v[10:11], v1, s[2:3]
	v_mov_b64_e32 v[4:5], v[8:9]
	s_wait_loadcnt 0x1
	s_delay_alu instid0(VALU_DEP_1) | instskip(SKIP_1) | instid1(VALU_DEP_1)
	v_and_b32_e32 v2, v2, v4
	s_wait_loadcnt 0x0
	v_mad_nc_u64_u32 v[8:9], v2, 24, v[10:11]
	s_delay_alu instid0(VALU_DEP_3) | instskip(NEXT) | instid1(VALU_DEP_1)
	v_and_b32_e32 v2, v3, v5
	v_mad_u32 v9, v2, 24, v9
	global_load_b64 v[2:3], v[8:9], off scope:SCOPE_SYS
	s_wait_xcnt 0x0
	s_wait_loadcnt 0x0
	global_atomic_cmpswap_b64 v[8:9], v1, v[2:5], s[2:3] offset:24 th:TH_ATOMIC_RETURN scope:SCOPE_SYS
	s_wait_loadcnt 0x0
	global_inv scope:SCOPE_SYS
	v_cmp_eq_u64_e32 vcc_lo, v[8:9], v[4:5]
	s_or_b32 s7, vcc_lo, s7
	s_wait_xcnt 0x0
	s_and_not1_b32 exec_lo, exec_lo, s7
	s_cbranch_execnz .LBB8_109
; %bb.110:
	s_or_b32 exec_lo, exec_lo, s7
.LBB8_111:
	s_delay_alu instid0(SALU_CYCLE_1)
	s_or_b32 exec_lo, exec_lo, s6
.LBB8_112:
	s_delay_alu instid0(SALU_CYCLE_1)
	s_or_b32 exec_lo, exec_lo, s1
	v_readfirstlane_b32 s6, v8
	v_mov_b32_e32 v1, 0
	v_readfirstlane_b32 s7, v9
	s_mov_b32 s1, exec_lo
	global_load_b64 v[10:11], v1, s[2:3] offset:40
	s_wait_loadcnt 0x1
	global_load_b128 v[2:5], v1, s[2:3]
	s_wait_loadcnt 0x1
	v_and_b32_e32 v8, s6, v10
	v_and_b32_e32 v9, s7, v11
	s_delay_alu instid0(VALU_DEP_1) | instskip(SKIP_1) | instid1(VALU_DEP_1)
	v_mul_u64_e32 v[10:11], 24, v[8:9]
	s_wait_loadcnt 0x0
	v_add_nc_u64_e32 v[10:11], v[2:3], v[10:11]
	s_wait_xcnt 0x0
	s_and_saveexec_b32 s8, s0
	s_cbranch_execz .LBB8_114
; %bb.113:
	v_mov_b64_e32 v[14:15], 0x100000002
	v_dual_mov_b32 v12, s1 :: v_dual_mov_b32 v13, v1
	global_store_b128 v[10:11], v[12:15], off offset:8
.LBB8_114:
	s_wait_xcnt 0x0
	s_or_b32 exec_lo, exec_lo, s8
	v_lshlrev_b64_e32 v[8:9], 12, v[8:9]
	s_mov_b32 s8, 0
	v_and_or_b32 v6, 0xffffff1f, v6, 32
	s_mov_b32 s10, s8
	s_mov_b32 s11, s8
	;; [unrolled: 1-line block ×3, first 2 shown]
	v_mov_b64_e32 v[16:17], s[10:11]
	v_add_nc_u64_e32 v[12:13], v[4:5], v[8:9]
	v_mov_b64_e32 v[14:15], s[8:9]
	v_dual_mov_b32 v8, v1 :: v_dual_mov_b32 v9, v1
	s_delay_alu instid0(VALU_DEP_3) | instskip(NEXT) | instid1(VALU_DEP_4)
	v_readfirstlane_b32 s12, v12
	v_readfirstlane_b32 s13, v13
	s_clause 0x3
	global_store_b128 v0, v[6:9], s[12:13]
	global_store_b128 v0, v[14:17], s[12:13] offset:16
	global_store_b128 v0, v[14:17], s[12:13] offset:32
	;; [unrolled: 1-line block ×3, first 2 shown]
	s_wait_xcnt 0x0
	s_and_saveexec_b32 s1, s0
	s_cbranch_execz .LBB8_122
; %bb.115:
	v_dual_mov_b32 v8, 0 :: v_dual_mov_b32 v15, s7
	s_mov_b32 s8, exec_lo
	s_clause 0x1
	global_load_b64 v[16:17], v8, s[2:3] offset:32 scope:SCOPE_SYS
	global_load_b64 v[4:5], v8, s[2:3] offset:40
	s_wait_loadcnt 0x0
	v_dual_mov_b32 v14, s6 :: v_dual_bitop2_b32 v5, s7, v5 bitop3:0x40
	v_and_b32_e32 v4, s6, v4
	s_delay_alu instid0(VALU_DEP_1) | instskip(NEXT) | instid1(VALU_DEP_1)
	v_mul_u64_e32 v[4:5], 24, v[4:5]
	v_add_nc_u64_e32 v[6:7], v[2:3], v[4:5]
	global_store_b64 v[6:7], v[16:17], off
	global_wb scope:SCOPE_SYS
	s_wait_storecnt 0x0
	s_wait_xcnt 0x0
	global_atomic_cmpswap_b64 v[4:5], v8, v[14:17], s[2:3] offset:32 th:TH_ATOMIC_RETURN scope:SCOPE_SYS
	s_wait_loadcnt 0x0
	v_cmpx_ne_u64_e64 v[4:5], v[16:17]
	s_cbranch_execz .LBB8_118
; %bb.116:
	s_mov_b32 s9, 0
.LBB8_117:                              ; =>This Inner Loop Header: Depth=1
	v_dual_mov_b32 v2, s6 :: v_dual_mov_b32 v3, s7
	s_sleep 1
	global_store_b64 v[6:7], v[4:5], off
	global_wb scope:SCOPE_SYS
	s_wait_storecnt 0x0
	s_wait_xcnt 0x0
	global_atomic_cmpswap_b64 v[2:3], v8, v[2:5], s[2:3] offset:32 th:TH_ATOMIC_RETURN scope:SCOPE_SYS
	s_wait_loadcnt 0x0
	v_cmp_eq_u64_e32 vcc_lo, v[2:3], v[4:5]
	v_mov_b64_e32 v[4:5], v[2:3]
	s_or_b32 s9, vcc_lo, s9
	s_delay_alu instid0(SALU_CYCLE_1)
	s_and_not1_b32 exec_lo, exec_lo, s9
	s_cbranch_execnz .LBB8_117
.LBB8_118:
	s_or_b32 exec_lo, exec_lo, s8
	v_mov_b32_e32 v5, 0
	s_mov_b32 s9, exec_lo
	s_mov_b32 s8, exec_lo
	v_mbcnt_lo_u32_b32 v4, s9, 0
	global_load_b64 v[2:3], v5, s[2:3] offset:16
	s_wait_xcnt 0x0
	v_cmpx_eq_u32_e32 0, v4
	s_cbranch_execz .LBB8_120
; %bb.119:
	s_bcnt1_i32_b32 s9, s9
	s_delay_alu instid0(SALU_CYCLE_1)
	v_mov_b32_e32 v4, s9
	global_wb scope:SCOPE_SYS
	s_wait_loadcnt 0x0
	s_wait_storecnt 0x0
	global_atomic_add_u64 v[2:3], v[4:5], off offset:8 scope:SCOPE_SYS
.LBB8_120:
	s_wait_xcnt 0x0
	s_or_b32 exec_lo, exec_lo, s8
	s_wait_loadcnt 0x0
	global_load_b64 v[4:5], v[2:3], off offset:16
	s_wait_loadcnt 0x0
	v_cmp_eq_u64_e32 vcc_lo, 0, v[4:5]
	s_cbranch_vccnz .LBB8_122
; %bb.121:
	global_load_b32 v2, v[2:3], off offset:24
	s_wait_xcnt 0x0
	v_mov_b32_e32 v3, 0
	s_wait_loadcnt 0x0
	v_readfirstlane_b32 s8, v2
	global_wb scope:SCOPE_SYS
	s_wait_storecnt 0x0
	global_store_b64 v[4:5], v[2:3], off scope:SCOPE_SYS
	s_and_b32 m0, s8, 0xffffff
	s_sendmsg sendmsg(MSG_INTERRUPT)
.LBB8_122:
	s_wait_xcnt 0x0
	s_or_b32 exec_lo, exec_lo, s1
	v_add_nc_u64_e32 v[2:3], v[12:13], v[0:1]
	s_branch .LBB8_126
.LBB8_123:                              ;   in Loop: Header=BB8_126 Depth=1
	s_wait_xcnt 0x0
	s_or_b32 exec_lo, exec_lo, s1
	s_delay_alu instid0(VALU_DEP_1)
	v_readfirstlane_b32 s1, v1
	s_cmp_eq_u32 s1, 0
	s_cbranch_scc1 .LBB8_125
; %bb.124:                              ;   in Loop: Header=BB8_126 Depth=1
	s_sleep 1
	s_cbranch_execnz .LBB8_126
	s_branch .LBB8_128
.LBB8_125:
	s_branch .LBB8_128
.LBB8_126:                              ; =>This Inner Loop Header: Depth=1
	v_mov_b32_e32 v1, 1
	s_and_saveexec_b32 s1, s0
	s_cbranch_execz .LBB8_123
; %bb.127:                              ;   in Loop: Header=BB8_126 Depth=1
	global_load_b32 v1, v[10:11], off offset:20 scope:SCOPE_SYS
	s_wait_loadcnt 0x0
	global_inv scope:SCOPE_SYS
	v_and_b32_e32 v1, 1, v1
	s_branch .LBB8_123
.LBB8_128:
	global_load_b64 v[2:3], v[2:3], off
	s_wait_xcnt 0x0
	s_and_saveexec_b32 s8, s0
	s_cbranch_execz .LBB8_132
; %bb.129:
	v_mov_b32_e32 v1, 0
	s_clause 0x2
	global_load_b64 v[4:5], v1, s[2:3] offset:40
	global_load_b64 v[12:13], v1, s[2:3] offset:24 scope:SCOPE_SYS
	global_load_b64 v[6:7], v1, s[2:3]
	s_wait_loadcnt 0x2
	v_readfirstlane_b32 s10, v4
	v_readfirstlane_b32 s11, v5
	s_add_nc_u64 s[0:1], s[10:11], 1
	s_delay_alu instid0(SALU_CYCLE_1) | instskip(NEXT) | instid1(SALU_CYCLE_1)
	s_add_nc_u64 s[6:7], s[0:1], s[6:7]
	s_cmp_eq_u64 s[6:7], 0
	s_cselect_b32 s1, s1, s7
	s_cselect_b32 s0, s0, s6
	v_mov_b32_e32 v11, s1
	s_and_b64 s[6:7], s[0:1], s[10:11]
	v_mov_b32_e32 v10, s0
	s_mul_u64 s[6:7], s[6:7], 24
	s_wait_loadcnt 0x0
	v_add_nc_u64_e32 v[8:9], s[6:7], v[6:7]
	global_store_b64 v[8:9], v[12:13], off
	global_wb scope:SCOPE_SYS
	s_wait_storecnt 0x0
	s_wait_xcnt 0x0
	global_atomic_cmpswap_b64 v[6:7], v1, v[10:13], s[2:3] offset:24 th:TH_ATOMIC_RETURN scope:SCOPE_SYS
	s_wait_loadcnt 0x0
	v_cmp_ne_u64_e32 vcc_lo, v[6:7], v[12:13]
	s_and_b32 exec_lo, exec_lo, vcc_lo
	s_cbranch_execz .LBB8_132
; %bb.130:
	s_mov_b32 s6, 0
.LBB8_131:                              ; =>This Inner Loop Header: Depth=1
	v_dual_mov_b32 v4, s0 :: v_dual_mov_b32 v5, s1
	s_sleep 1
	global_store_b64 v[8:9], v[6:7], off
	global_wb scope:SCOPE_SYS
	s_wait_storecnt 0x0
	s_wait_xcnt 0x0
	global_atomic_cmpswap_b64 v[4:5], v1, v[4:7], s[2:3] offset:24 th:TH_ATOMIC_RETURN scope:SCOPE_SYS
	s_wait_loadcnt 0x0
	v_cmp_eq_u64_e32 vcc_lo, v[4:5], v[6:7]
	v_mov_b64_e32 v[6:7], v[4:5]
	s_or_b32 s6, vcc_lo, s6
	s_delay_alu instid0(SALU_CYCLE_1)
	s_and_not1_b32 exec_lo, exec_lo, s6
	s_cbranch_execnz .LBB8_131
.LBB8_132:
	s_or_b32 exec_lo, exec_lo, s8
.LBB8_133:
	s_get_pc_i64 s[6:7]
	s_add_nc_u64 s[6:7], s[6:7], .str.10@rel64+4
	s_delay_alu instid0(SALU_CYCLE_1) | instskip(SKIP_1) | instid1(SALU_CYCLE_1)
	s_cmp_lg_u64 s[6:7], 0
	s_cselect_b32 s19, -1, 0
	s_and_b32 vcc_lo, exec_lo, s19
	s_cbranch_vccz .LBB8_212
; %bb.134:
	v_mov_b64_e32 v[10:11], 0x100000002
	s_wait_loadcnt 0x0
	v_dual_mov_b32 v9, 0 :: v_dual_bitop2_b32 v28, 2, v2 bitop3:0x40
	v_dual_mov_b32 v5, v3 :: v_dual_bitop2_b32 v4, -3, v2 bitop3:0x40
	s_mov_b64 s[10:11], 52
	s_get_pc_i64 s[8:9]
	s_add_nc_u64 s[8:9], s[8:9], .str.10@rel64+4
	s_branch .LBB8_136
.LBB8_135:                              ;   in Loop: Header=BB8_136 Depth=1
	s_or_b32 exec_lo, exec_lo, s16
	s_sub_nc_u64 s[10:11], s[10:11], s[12:13]
	s_add_nc_u64 s[8:9], s[8:9], s[12:13]
	s_cmp_lg_u64 s[10:11], 0
	s_cbranch_scc0 .LBB8_211
.LBB8_136:                              ; =>This Loop Header: Depth=1
                                        ;     Child Loop BB8_139 Depth 2
                                        ;     Child Loop BB8_146 Depth 2
	;; [unrolled: 1-line block ×11, first 2 shown]
	v_min_u64 v[6:7], s[10:11], 56
	v_cmp_gt_u64_e64 s0, s[10:11], 7
	s_and_b32 vcc_lo, exec_lo, s0
	v_readfirstlane_b32 s12, v6
	v_readfirstlane_b32 s13, v7
	s_cbranch_vccnz .LBB8_141
; %bb.137:                              ;   in Loop: Header=BB8_136 Depth=1
	v_mov_b64_e32 v[6:7], 0
	s_cmp_eq_u64 s[10:11], 0
	s_cbranch_scc1 .LBB8_140
; %bb.138:                              ;   in Loop: Header=BB8_136 Depth=1
	s_mov_b64 s[0:1], 0
	s_mov_b64 s[14:15], 0
.LBB8_139:                              ;   Parent Loop BB8_136 Depth=1
                                        ; =>  This Inner Loop Header: Depth=2
	s_wait_xcnt 0x0
	s_add_nc_u64 s[16:17], s[8:9], s[14:15]
	s_add_nc_u64 s[14:15], s[14:15], 1
	global_load_u8 v1, v9, s[16:17]
	s_cmp_lg_u32 s12, s14
	s_wait_loadcnt 0x0
	v_and_b32_e32 v8, 0xffff, v1
	s_delay_alu instid0(VALU_DEP_1) | instskip(SKIP_1) | instid1(VALU_DEP_1)
	v_lshlrev_b64_e32 v[12:13], s0, v[8:9]
	s_add_nc_u64 s[0:1], s[0:1], 8
	v_or_b32_e32 v6, v12, v6
	s_delay_alu instid0(VALU_DEP_2)
	v_or_b32_e32 v7, v13, v7
	s_cbranch_scc1 .LBB8_139
.LBB8_140:                              ;   in Loop: Header=BB8_136 Depth=1
	s_mov_b64 s[14:15], s[8:9]
	s_mov_b32 s20, 0
	s_cbranch_execz .LBB8_142
	s_branch .LBB8_143
.LBB8_141:                              ;   in Loop: Header=BB8_136 Depth=1
	s_add_nc_u64 s[14:15], s[8:9], 8
	s_mov_b32 s20, 0
.LBB8_142:                              ;   in Loop: Header=BB8_136 Depth=1
	global_load_b64 v[6:7], v9, s[8:9]
	s_add_co_i32 s20, s12, -8
.LBB8_143:                              ;   in Loop: Header=BB8_136 Depth=1
	s_delay_alu instid0(SALU_CYCLE_1)
	s_cmp_gt_u32 s20, 7
	s_cbranch_scc1 .LBB8_148
; %bb.144:                              ;   in Loop: Header=BB8_136 Depth=1
	v_mov_b64_e32 v[12:13], 0
	s_cmp_eq_u32 s20, 0
	s_cbranch_scc1 .LBB8_147
; %bb.145:                              ;   in Loop: Header=BB8_136 Depth=1
	s_mov_b64 s[0:1], 0
	s_wait_xcnt 0x0
	s_mov_b64 s[16:17], 0
.LBB8_146:                              ;   Parent Loop BB8_136 Depth=1
                                        ; =>  This Inner Loop Header: Depth=2
	s_wait_xcnt 0x0
	s_add_nc_u64 s[22:23], s[14:15], s[16:17]
	s_add_nc_u64 s[16:17], s[16:17], 1
	global_load_u8 v1, v9, s[22:23]
	s_cmp_lg_u32 s20, s16
	s_wait_loadcnt 0x0
	v_and_b32_e32 v8, 0xffff, v1
	s_delay_alu instid0(VALU_DEP_1) | instskip(SKIP_1) | instid1(VALU_DEP_1)
	v_lshlrev_b64_e32 v[14:15], s0, v[8:9]
	s_add_nc_u64 s[0:1], s[0:1], 8
	v_or_b32_e32 v12, v14, v12
	s_delay_alu instid0(VALU_DEP_2)
	v_or_b32_e32 v13, v15, v13
	s_cbranch_scc1 .LBB8_146
.LBB8_147:                              ;   in Loop: Header=BB8_136 Depth=1
	s_wait_xcnt 0x0
	s_mov_b64 s[0:1], s[14:15]
	s_mov_b32 s21, 0
	s_cbranch_execz .LBB8_149
	s_branch .LBB8_150
.LBB8_148:                              ;   in Loop: Header=BB8_136 Depth=1
	s_add_nc_u64 s[0:1], s[14:15], 8
	s_wait_xcnt 0x0
                                        ; implicit-def: $vgpr12_vgpr13
	s_mov_b32 s21, 0
.LBB8_149:                              ;   in Loop: Header=BB8_136 Depth=1
	global_load_b64 v[12:13], v9, s[14:15]
	s_add_co_i32 s21, s20, -8
.LBB8_150:                              ;   in Loop: Header=BB8_136 Depth=1
	s_delay_alu instid0(SALU_CYCLE_1)
	s_cmp_gt_u32 s21, 7
	s_cbranch_scc1 .LBB8_155
; %bb.151:                              ;   in Loop: Header=BB8_136 Depth=1
	v_mov_b64_e32 v[14:15], 0
	s_cmp_eq_u32 s21, 0
	s_cbranch_scc1 .LBB8_154
; %bb.152:                              ;   in Loop: Header=BB8_136 Depth=1
	s_wait_xcnt 0x0
	s_mov_b64 s[14:15], 0
	s_mov_b64 s[16:17], 0
.LBB8_153:                              ;   Parent Loop BB8_136 Depth=1
                                        ; =>  This Inner Loop Header: Depth=2
	s_wait_xcnt 0x0
	s_add_nc_u64 s[22:23], s[0:1], s[16:17]
	s_add_nc_u64 s[16:17], s[16:17], 1
	global_load_u8 v1, v9, s[22:23]
	s_cmp_lg_u32 s21, s16
	s_wait_loadcnt 0x0
	v_and_b32_e32 v8, 0xffff, v1
	s_delay_alu instid0(VALU_DEP_1) | instskip(SKIP_1) | instid1(VALU_DEP_1)
	v_lshlrev_b64_e32 v[16:17], s14, v[8:9]
	s_add_nc_u64 s[14:15], s[14:15], 8
	v_or_b32_e32 v14, v16, v14
	s_delay_alu instid0(VALU_DEP_2)
	v_or_b32_e32 v15, v17, v15
	s_cbranch_scc1 .LBB8_153
.LBB8_154:                              ;   in Loop: Header=BB8_136 Depth=1
	s_wait_xcnt 0x0
	s_mov_b64 s[14:15], s[0:1]
	s_mov_b32 s20, 0
	s_cbranch_execz .LBB8_156
	s_branch .LBB8_157
.LBB8_155:                              ;   in Loop: Header=BB8_136 Depth=1
	s_wait_xcnt 0x0
	s_add_nc_u64 s[14:15], s[0:1], 8
	s_mov_b32 s20, 0
.LBB8_156:                              ;   in Loop: Header=BB8_136 Depth=1
	global_load_b64 v[14:15], v9, s[0:1]
	s_add_co_i32 s20, s21, -8
.LBB8_157:                              ;   in Loop: Header=BB8_136 Depth=1
	s_delay_alu instid0(SALU_CYCLE_1)
	s_cmp_gt_u32 s20, 7
	s_cbranch_scc1 .LBB8_162
; %bb.158:                              ;   in Loop: Header=BB8_136 Depth=1
	v_mov_b64_e32 v[16:17], 0
	s_cmp_eq_u32 s20, 0
	s_cbranch_scc1 .LBB8_161
; %bb.159:                              ;   in Loop: Header=BB8_136 Depth=1
	s_wait_xcnt 0x0
	s_mov_b64 s[0:1], 0
	s_mov_b64 s[16:17], 0
.LBB8_160:                              ;   Parent Loop BB8_136 Depth=1
                                        ; =>  This Inner Loop Header: Depth=2
	s_wait_xcnt 0x0
	s_add_nc_u64 s[22:23], s[14:15], s[16:17]
	s_add_nc_u64 s[16:17], s[16:17], 1
	global_load_u8 v1, v9, s[22:23]
	s_cmp_lg_u32 s20, s16
	s_wait_loadcnt 0x0
	v_and_b32_e32 v8, 0xffff, v1
	s_delay_alu instid0(VALU_DEP_1) | instskip(SKIP_1) | instid1(VALU_DEP_1)
	v_lshlrev_b64_e32 v[18:19], s0, v[8:9]
	s_add_nc_u64 s[0:1], s[0:1], 8
	v_or_b32_e32 v16, v18, v16
	s_delay_alu instid0(VALU_DEP_2)
	v_or_b32_e32 v17, v19, v17
	s_cbranch_scc1 .LBB8_160
.LBB8_161:                              ;   in Loop: Header=BB8_136 Depth=1
	s_wait_xcnt 0x0
	s_mov_b64 s[0:1], s[14:15]
	s_mov_b32 s21, 0
	s_cbranch_execz .LBB8_163
	s_branch .LBB8_164
.LBB8_162:                              ;   in Loop: Header=BB8_136 Depth=1
	s_wait_xcnt 0x0
	s_add_nc_u64 s[0:1], s[14:15], 8
                                        ; implicit-def: $vgpr16_vgpr17
	s_mov_b32 s21, 0
.LBB8_163:                              ;   in Loop: Header=BB8_136 Depth=1
	global_load_b64 v[16:17], v9, s[14:15]
	s_add_co_i32 s21, s20, -8
.LBB8_164:                              ;   in Loop: Header=BB8_136 Depth=1
	s_delay_alu instid0(SALU_CYCLE_1)
	s_cmp_gt_u32 s21, 7
	s_cbranch_scc1 .LBB8_169
; %bb.165:                              ;   in Loop: Header=BB8_136 Depth=1
	v_mov_b64_e32 v[18:19], 0
	s_cmp_eq_u32 s21, 0
	s_cbranch_scc1 .LBB8_168
; %bb.166:                              ;   in Loop: Header=BB8_136 Depth=1
	s_wait_xcnt 0x0
	s_mov_b64 s[14:15], 0
	s_mov_b64 s[16:17], 0
.LBB8_167:                              ;   Parent Loop BB8_136 Depth=1
                                        ; =>  This Inner Loop Header: Depth=2
	s_wait_xcnt 0x0
	s_add_nc_u64 s[22:23], s[0:1], s[16:17]
	s_add_nc_u64 s[16:17], s[16:17], 1
	global_load_u8 v1, v9, s[22:23]
	s_cmp_lg_u32 s21, s16
	s_wait_loadcnt 0x0
	v_and_b32_e32 v8, 0xffff, v1
	s_delay_alu instid0(VALU_DEP_1) | instskip(SKIP_1) | instid1(VALU_DEP_1)
	v_lshlrev_b64_e32 v[20:21], s14, v[8:9]
	s_add_nc_u64 s[14:15], s[14:15], 8
	v_or_b32_e32 v18, v20, v18
	s_delay_alu instid0(VALU_DEP_2)
	v_or_b32_e32 v19, v21, v19
	s_cbranch_scc1 .LBB8_167
.LBB8_168:                              ;   in Loop: Header=BB8_136 Depth=1
	s_wait_xcnt 0x0
	s_mov_b64 s[14:15], s[0:1]
	s_mov_b32 s20, 0
	s_cbranch_execz .LBB8_170
	s_branch .LBB8_171
.LBB8_169:                              ;   in Loop: Header=BB8_136 Depth=1
	s_wait_xcnt 0x0
	s_add_nc_u64 s[14:15], s[0:1], 8
	s_mov_b32 s20, 0
.LBB8_170:                              ;   in Loop: Header=BB8_136 Depth=1
	global_load_b64 v[18:19], v9, s[0:1]
	s_add_co_i32 s20, s21, -8
.LBB8_171:                              ;   in Loop: Header=BB8_136 Depth=1
	s_delay_alu instid0(SALU_CYCLE_1)
	s_cmp_gt_u32 s20, 7
	s_cbranch_scc1 .LBB8_176
; %bb.172:                              ;   in Loop: Header=BB8_136 Depth=1
	v_mov_b64_e32 v[20:21], 0
	s_cmp_eq_u32 s20, 0
	s_cbranch_scc1 .LBB8_175
; %bb.173:                              ;   in Loop: Header=BB8_136 Depth=1
	s_wait_xcnt 0x0
	s_mov_b64 s[0:1], 0
	s_mov_b64 s[16:17], 0
.LBB8_174:                              ;   Parent Loop BB8_136 Depth=1
                                        ; =>  This Inner Loop Header: Depth=2
	s_wait_xcnt 0x0
	s_add_nc_u64 s[22:23], s[14:15], s[16:17]
	s_add_nc_u64 s[16:17], s[16:17], 1
	global_load_u8 v1, v9, s[22:23]
	s_cmp_lg_u32 s20, s16
	s_wait_loadcnt 0x0
	v_and_b32_e32 v8, 0xffff, v1
	s_delay_alu instid0(VALU_DEP_1) | instskip(SKIP_1) | instid1(VALU_DEP_1)
	v_lshlrev_b64_e32 v[22:23], s0, v[8:9]
	s_add_nc_u64 s[0:1], s[0:1], 8
	v_or_b32_e32 v20, v22, v20
	s_delay_alu instid0(VALU_DEP_2)
	v_or_b32_e32 v21, v23, v21
	s_cbranch_scc1 .LBB8_174
.LBB8_175:                              ;   in Loop: Header=BB8_136 Depth=1
	s_wait_xcnt 0x0
	s_mov_b64 s[0:1], s[14:15]
	s_mov_b32 s21, 0
	s_cbranch_execz .LBB8_177
	s_branch .LBB8_178
.LBB8_176:                              ;   in Loop: Header=BB8_136 Depth=1
	s_wait_xcnt 0x0
	s_add_nc_u64 s[0:1], s[14:15], 8
                                        ; implicit-def: $vgpr20_vgpr21
	s_mov_b32 s21, 0
.LBB8_177:                              ;   in Loop: Header=BB8_136 Depth=1
	global_load_b64 v[20:21], v9, s[14:15]
	s_add_co_i32 s21, s20, -8
.LBB8_178:                              ;   in Loop: Header=BB8_136 Depth=1
	s_delay_alu instid0(SALU_CYCLE_1)
	s_cmp_gt_u32 s21, 7
	s_cbranch_scc1 .LBB8_183
; %bb.179:                              ;   in Loop: Header=BB8_136 Depth=1
	v_mov_b64_e32 v[22:23], 0
	s_cmp_eq_u32 s21, 0
	s_cbranch_scc1 .LBB8_182
; %bb.180:                              ;   in Loop: Header=BB8_136 Depth=1
	s_wait_xcnt 0x0
	s_mov_b64 s[14:15], 0
	s_mov_b64 s[16:17], s[0:1]
.LBB8_181:                              ;   Parent Loop BB8_136 Depth=1
                                        ; =>  This Inner Loop Header: Depth=2
	global_load_u8 v1, v9, s[16:17]
	s_add_co_i32 s21, s21, -1
	s_wait_xcnt 0x0
	s_add_nc_u64 s[16:17], s[16:17], 1
	s_cmp_lg_u32 s21, 0
	s_wait_loadcnt 0x0
	v_and_b32_e32 v8, 0xffff, v1
	s_delay_alu instid0(VALU_DEP_1) | instskip(SKIP_1) | instid1(VALU_DEP_1)
	v_lshlrev_b64_e32 v[24:25], s14, v[8:9]
	s_add_nc_u64 s[14:15], s[14:15], 8
	v_or_b32_e32 v22, v24, v22
	s_delay_alu instid0(VALU_DEP_2)
	v_or_b32_e32 v23, v25, v23
	s_cbranch_scc1 .LBB8_181
.LBB8_182:                              ;   in Loop: Header=BB8_136 Depth=1
	s_wait_xcnt 0x0
	s_cbranch_execz .LBB8_184
	s_branch .LBB8_185
.LBB8_183:                              ;   in Loop: Header=BB8_136 Depth=1
	s_wait_xcnt 0x0
.LBB8_184:                              ;   in Loop: Header=BB8_136 Depth=1
	global_load_b64 v[22:23], v9, s[0:1]
.LBB8_185:                              ;   in Loop: Header=BB8_136 Depth=1
	s_wait_xcnt 0x0
	v_readfirstlane_b32 s0, v29
	v_mov_b64_e32 v[30:31], 0
	s_delay_alu instid0(VALU_DEP_2)
	v_cmp_eq_u32_e64 s0, s0, v29
	s_and_saveexec_b32 s1, s0
	s_cbranch_execz .LBB8_191
; %bb.186:                              ;   in Loop: Header=BB8_136 Depth=1
	global_load_b64 v[26:27], v9, s[2:3] offset:24 scope:SCOPE_SYS
	s_wait_loadcnt 0x0
	global_inv scope:SCOPE_SYS
	s_clause 0x1
	global_load_b64 v[24:25], v9, s[2:3] offset:40
	global_load_b64 v[30:31], v9, s[2:3]
	s_mov_b32 s14, exec_lo
	s_wait_loadcnt 0x1
	v_and_b32_e32 v24, v24, v26
	v_and_b32_e32 v25, v25, v27
	s_delay_alu instid0(VALU_DEP_1) | instskip(SKIP_1) | instid1(VALU_DEP_1)
	v_mul_u64_e32 v[24:25], 24, v[24:25]
	s_wait_loadcnt 0x0
	v_add_nc_u64_e32 v[24:25], v[30:31], v[24:25]
	global_load_b64 v[24:25], v[24:25], off scope:SCOPE_SYS
	s_wait_xcnt 0x0
	s_wait_loadcnt 0x0
	global_atomic_cmpswap_b64 v[30:31], v9, v[24:27], s[2:3] offset:24 th:TH_ATOMIC_RETURN scope:SCOPE_SYS
	s_wait_loadcnt 0x0
	global_inv scope:SCOPE_SYS
	s_wait_xcnt 0x0
	v_cmpx_ne_u64_e64 v[30:31], v[26:27]
	s_cbranch_execz .LBB8_190
; %bb.187:                              ;   in Loop: Header=BB8_136 Depth=1
	s_mov_b32 s15, 0
.LBB8_188:                              ;   Parent Loop BB8_136 Depth=1
                                        ; =>  This Inner Loop Header: Depth=2
	s_sleep 1
	s_clause 0x1
	global_load_b64 v[24:25], v9, s[2:3] offset:40
	global_load_b64 v[32:33], v9, s[2:3]
	v_mov_b64_e32 v[26:27], v[30:31]
	s_wait_loadcnt 0x1
	s_delay_alu instid0(VALU_DEP_1) | instskip(SKIP_1) | instid1(VALU_DEP_1)
	v_and_b32_e32 v1, v24, v26
	s_wait_loadcnt 0x0
	v_mad_nc_u64_u32 v[30:31], v1, 24, v[32:33]
	s_delay_alu instid0(VALU_DEP_3) | instskip(NEXT) | instid1(VALU_DEP_1)
	v_and_b32_e32 v1, v25, v27
	v_mad_u32 v31, v1, 24, v31
	global_load_b64 v[24:25], v[30:31], off scope:SCOPE_SYS
	s_wait_xcnt 0x0
	s_wait_loadcnt 0x0
	global_atomic_cmpswap_b64 v[30:31], v9, v[24:27], s[2:3] offset:24 th:TH_ATOMIC_RETURN scope:SCOPE_SYS
	s_wait_loadcnt 0x0
	global_inv scope:SCOPE_SYS
	v_cmp_eq_u64_e32 vcc_lo, v[30:31], v[26:27]
	s_or_b32 s15, vcc_lo, s15
	s_wait_xcnt 0x0
	s_and_not1_b32 exec_lo, exec_lo, s15
	s_cbranch_execnz .LBB8_188
; %bb.189:                              ;   in Loop: Header=BB8_136 Depth=1
	s_or_b32 exec_lo, exec_lo, s15
.LBB8_190:                              ;   in Loop: Header=BB8_136 Depth=1
	s_delay_alu instid0(SALU_CYCLE_1)
	s_or_b32 exec_lo, exec_lo, s14
.LBB8_191:                              ;   in Loop: Header=BB8_136 Depth=1
	s_delay_alu instid0(SALU_CYCLE_1)
	s_or_b32 exec_lo, exec_lo, s1
	s_clause 0x1
	global_load_b64 v[32:33], v9, s[2:3] offset:40
	global_load_b128 v[24:27], v9, s[2:3]
	v_readfirstlane_b32 s14, v30
	v_readfirstlane_b32 s15, v31
	s_mov_b32 s1, exec_lo
	s_wait_loadcnt 0x1
	v_and_b32_e32 v32, s14, v32
	v_and_b32_e32 v33, s15, v33
	s_delay_alu instid0(VALU_DEP_1) | instskip(SKIP_1) | instid1(VALU_DEP_1)
	v_mul_u64_e32 v[30:31], 24, v[32:33]
	s_wait_loadcnt 0x0
	v_add_nc_u64_e32 v[30:31], v[24:25], v[30:31]
	s_wait_xcnt 0x0
	s_and_saveexec_b32 s16, s0
	s_cbranch_execz .LBB8_193
; %bb.192:                              ;   in Loop: Header=BB8_136 Depth=1
	v_mov_b32_e32 v8, s1
	global_store_b128 v[30:31], v[8:11], off offset:8
.LBB8_193:                              ;   in Loop: Header=BB8_136 Depth=1
	s_wait_xcnt 0x0
	s_or_b32 exec_lo, exec_lo, s16
	v_cmp_lt_u64_e64 vcc_lo, s[10:11], 57
	v_lshlrev_b64_e32 v[32:33], 12, v[32:33]
	v_and_b32_e32 v4, 0xffffff1f, v4
	s_lshl_b32 s1, s12, 2
	s_delay_alu instid0(SALU_CYCLE_1) | instskip(SKIP_1) | instid1(VALU_DEP_3)
	s_add_co_i32 s1, s1, 28
	v_cndmask_b32_e32 v1, 0, v28, vcc_lo
	v_add_nc_u64_e32 v[26:27], v[26:27], v[32:33]
	s_delay_alu instid0(VALU_DEP_2) | instskip(NEXT) | instid1(VALU_DEP_2)
	v_or_b32_e32 v1, v4, v1
	v_readfirstlane_b32 s16, v26
	s_delay_alu instid0(VALU_DEP_3) | instskip(NEXT) | instid1(VALU_DEP_3)
	v_readfirstlane_b32 s17, v27
	v_and_or_b32 v4, 0x1e0, s1, v1
	s_clause 0x3
	global_store_b128 v0, v[4:7], s[16:17]
	global_store_b128 v0, v[12:15], s[16:17] offset:16
	global_store_b128 v0, v[16:19], s[16:17] offset:32
	global_store_b128 v0, v[20:23], s[16:17] offset:48
	s_wait_xcnt 0x0
	s_and_saveexec_b32 s1, s0
	s_cbranch_execz .LBB8_201
; %bb.194:                              ;   in Loop: Header=BB8_136 Depth=1
	s_clause 0x1
	global_load_b64 v[16:17], v9, s[2:3] offset:32 scope:SCOPE_SYS
	global_load_b64 v[4:5], v9, s[2:3] offset:40
	s_mov_b32 s16, exec_lo
	v_dual_mov_b32 v14, s14 :: v_dual_mov_b32 v15, s15
	s_wait_loadcnt 0x0
	v_and_b32_e32 v5, s15, v5
	v_and_b32_e32 v4, s14, v4
	s_delay_alu instid0(VALU_DEP_1) | instskip(NEXT) | instid1(VALU_DEP_1)
	v_mul_u64_e32 v[4:5], 24, v[4:5]
	v_add_nc_u64_e32 v[12:13], v[24:25], v[4:5]
	global_store_b64 v[12:13], v[16:17], off
	global_wb scope:SCOPE_SYS
	s_wait_storecnt 0x0
	s_wait_xcnt 0x0
	global_atomic_cmpswap_b64 v[6:7], v9, v[14:17], s[2:3] offset:32 th:TH_ATOMIC_RETURN scope:SCOPE_SYS
	s_wait_loadcnt 0x0
	v_cmpx_ne_u64_e64 v[6:7], v[16:17]
	s_cbranch_execz .LBB8_197
; %bb.195:                              ;   in Loop: Header=BB8_136 Depth=1
	s_mov_b32 s17, 0
.LBB8_196:                              ;   Parent Loop BB8_136 Depth=1
                                        ; =>  This Inner Loop Header: Depth=2
	v_dual_mov_b32 v4, s14 :: v_dual_mov_b32 v5, s15
	s_sleep 1
	global_store_b64 v[12:13], v[6:7], off
	global_wb scope:SCOPE_SYS
	s_wait_storecnt 0x0
	s_wait_xcnt 0x0
	global_atomic_cmpswap_b64 v[4:5], v9, v[4:7], s[2:3] offset:32 th:TH_ATOMIC_RETURN scope:SCOPE_SYS
	s_wait_loadcnt 0x0
	v_cmp_eq_u64_e32 vcc_lo, v[4:5], v[6:7]
	v_mov_b64_e32 v[6:7], v[4:5]
	s_or_b32 s17, vcc_lo, s17
	s_delay_alu instid0(SALU_CYCLE_1)
	s_and_not1_b32 exec_lo, exec_lo, s17
	s_cbranch_execnz .LBB8_196
.LBB8_197:                              ;   in Loop: Header=BB8_136 Depth=1
	s_or_b32 exec_lo, exec_lo, s16
	global_load_b64 v[4:5], v9, s[2:3] offset:16
	s_mov_b32 s17, exec_lo
	s_mov_b32 s16, exec_lo
	v_mbcnt_lo_u32_b32 v1, s17, 0
	s_wait_xcnt 0x0
	s_delay_alu instid0(VALU_DEP_1)
	v_cmpx_eq_u32_e32 0, v1
	s_cbranch_execz .LBB8_199
; %bb.198:                              ;   in Loop: Header=BB8_136 Depth=1
	s_bcnt1_i32_b32 s17, s17
	s_delay_alu instid0(SALU_CYCLE_1)
	v_mov_b32_e32 v8, s17
	global_wb scope:SCOPE_SYS
	s_wait_loadcnt 0x0
	s_wait_storecnt 0x0
	global_atomic_add_u64 v[4:5], v[8:9], off offset:8 scope:SCOPE_SYS
.LBB8_199:                              ;   in Loop: Header=BB8_136 Depth=1
	s_wait_xcnt 0x0
	s_or_b32 exec_lo, exec_lo, s16
	s_wait_loadcnt 0x0
	global_load_b64 v[6:7], v[4:5], off offset:16
	s_wait_loadcnt 0x0
	v_cmp_eq_u64_e32 vcc_lo, 0, v[6:7]
	s_cbranch_vccnz .LBB8_201
; %bb.200:                              ;   in Loop: Header=BB8_136 Depth=1
	global_load_b32 v8, v[4:5], off offset:24
	s_wait_loadcnt 0x0
	v_readfirstlane_b32 s16, v8
	global_wb scope:SCOPE_SYS
	s_wait_storecnt 0x0
	s_wait_xcnt 0x0
	global_store_b64 v[6:7], v[8:9], off scope:SCOPE_SYS
	s_and_b32 m0, s16, 0xffffff
	s_sendmsg sendmsg(MSG_INTERRUPT)
.LBB8_201:                              ;   in Loop: Header=BB8_136 Depth=1
	s_wait_xcnt 0x0
	s_or_b32 exec_lo, exec_lo, s1
	v_mov_b32_e32 v1, v9
	s_delay_alu instid0(VALU_DEP_1)
	v_add_nc_u64_e32 v[4:5], v[26:27], v[0:1]
	s_branch .LBB8_205
.LBB8_202:                              ;   in Loop: Header=BB8_205 Depth=2
	s_wait_xcnt 0x0
	s_or_b32 exec_lo, exec_lo, s1
	s_delay_alu instid0(VALU_DEP_1)
	v_readfirstlane_b32 s1, v1
	s_cmp_eq_u32 s1, 0
	s_cbranch_scc1 .LBB8_204
; %bb.203:                              ;   in Loop: Header=BB8_205 Depth=2
	s_sleep 1
	s_cbranch_execnz .LBB8_205
	s_branch .LBB8_207
.LBB8_204:                              ;   in Loop: Header=BB8_136 Depth=1
	s_branch .LBB8_207
.LBB8_205:                              ;   Parent Loop BB8_136 Depth=1
                                        ; =>  This Inner Loop Header: Depth=2
	v_mov_b32_e32 v1, 1
	s_and_saveexec_b32 s1, s0
	s_cbranch_execz .LBB8_202
; %bb.206:                              ;   in Loop: Header=BB8_205 Depth=2
	global_load_b32 v1, v[30:31], off offset:20 scope:SCOPE_SYS
	s_wait_loadcnt 0x0
	global_inv scope:SCOPE_SYS
	v_and_b32_e32 v1, 1, v1
	s_branch .LBB8_202
.LBB8_207:                              ;   in Loop: Header=BB8_136 Depth=1
	global_load_b64 v[4:5], v[4:5], off
	s_wait_xcnt 0x0
	s_and_saveexec_b32 s16, s0
	s_cbranch_execz .LBB8_135
; %bb.208:                              ;   in Loop: Header=BB8_136 Depth=1
	s_clause 0x2
	global_load_b64 v[6:7], v9, s[2:3] offset:40
	global_load_b64 v[16:17], v9, s[2:3] offset:24 scope:SCOPE_SYS
	global_load_b64 v[12:13], v9, s[2:3]
	s_wait_loadcnt 0x2
	v_readfirstlane_b32 s20, v6
	v_readfirstlane_b32 s21, v7
	s_add_nc_u64 s[0:1], s[20:21], 1
	s_delay_alu instid0(SALU_CYCLE_1) | instskip(NEXT) | instid1(SALU_CYCLE_1)
	s_add_nc_u64 s[14:15], s[0:1], s[14:15]
	s_cmp_eq_u64 s[14:15], 0
	s_cselect_b32 s1, s1, s15
	s_cselect_b32 s0, s0, s14
	s_delay_alu instid0(SALU_CYCLE_1) | instskip(SKIP_1) | instid1(SALU_CYCLE_1)
	v_dual_mov_b32 v15, s1 :: v_dual_mov_b32 v14, s0
	s_and_b64 s[14:15], s[0:1], s[20:21]
	s_mul_u64 s[14:15], s[14:15], 24
	s_wait_loadcnt 0x0
	v_add_nc_u64_e32 v[6:7], s[14:15], v[12:13]
	global_store_b64 v[6:7], v[16:17], off
	global_wb scope:SCOPE_SYS
	s_wait_storecnt 0x0
	s_wait_xcnt 0x0
	global_atomic_cmpswap_b64 v[14:15], v9, v[14:17], s[2:3] offset:24 th:TH_ATOMIC_RETURN scope:SCOPE_SYS
	s_wait_loadcnt 0x0
	v_cmp_ne_u64_e32 vcc_lo, v[14:15], v[16:17]
	s_and_b32 exec_lo, exec_lo, vcc_lo
	s_cbranch_execz .LBB8_135
; %bb.209:                              ;   in Loop: Header=BB8_136 Depth=1
	s_mov_b32 s14, 0
.LBB8_210:                              ;   Parent Loop BB8_136 Depth=1
                                        ; =>  This Inner Loop Header: Depth=2
	v_dual_mov_b32 v12, s0 :: v_dual_mov_b32 v13, s1
	s_sleep 1
	global_store_b64 v[6:7], v[14:15], off
	global_wb scope:SCOPE_SYS
	s_wait_storecnt 0x0
	s_wait_xcnt 0x0
	global_atomic_cmpswap_b64 v[12:13], v9, v[12:15], s[2:3] offset:24 th:TH_ATOMIC_RETURN scope:SCOPE_SYS
	s_wait_loadcnt 0x0
	v_cmp_eq_u64_e32 vcc_lo, v[12:13], v[14:15]
	v_mov_b64_e32 v[14:15], v[12:13]
	s_or_b32 s14, vcc_lo, s14
	s_delay_alu instid0(SALU_CYCLE_1)
	s_and_not1_b32 exec_lo, exec_lo, s14
	s_cbranch_execnz .LBB8_210
	s_branch .LBB8_135
.LBB8_211:
	s_branch .LBB8_240
.LBB8_212:
                                        ; implicit-def: $vgpr4_vgpr5
	s_cbranch_execz .LBB8_240
; %bb.213:
	v_readfirstlane_b32 s0, v29
	s_wait_loadcnt 0x0
	v_mov_b64_e32 v[4:5], 0
	s_delay_alu instid0(VALU_DEP_2)
	v_cmp_eq_u32_e64 s0, s0, v29
	s_and_saveexec_b32 s1, s0
	s_cbranch_execz .LBB8_219
; %bb.214:
	v_mov_b32_e32 v1, 0
	s_mov_b32 s8, exec_lo
	global_load_b64 v[6:7], v1, s[2:3] offset:24 scope:SCOPE_SYS
	s_wait_loadcnt 0x0
	global_inv scope:SCOPE_SYS
	s_clause 0x1
	global_load_b64 v[4:5], v1, s[2:3] offset:40
	global_load_b64 v[8:9], v1, s[2:3]
	s_wait_loadcnt 0x1
	v_and_b32_e32 v4, v4, v6
	v_and_b32_e32 v5, v5, v7
	s_delay_alu instid0(VALU_DEP_1) | instskip(SKIP_1) | instid1(VALU_DEP_1)
	v_mul_u64_e32 v[4:5], 24, v[4:5]
	s_wait_loadcnt 0x0
	v_add_nc_u64_e32 v[4:5], v[8:9], v[4:5]
	global_load_b64 v[4:5], v[4:5], off scope:SCOPE_SYS
	s_wait_xcnt 0x0
	s_wait_loadcnt 0x0
	global_atomic_cmpswap_b64 v[4:5], v1, v[4:7], s[2:3] offset:24 th:TH_ATOMIC_RETURN scope:SCOPE_SYS
	s_wait_loadcnt 0x0
	global_inv scope:SCOPE_SYS
	s_wait_xcnt 0x0
	v_cmpx_ne_u64_e64 v[4:5], v[6:7]
	s_cbranch_execz .LBB8_218
; %bb.215:
	s_mov_b32 s9, 0
.LBB8_216:                              ; =>This Inner Loop Header: Depth=1
	s_sleep 1
	s_clause 0x1
	global_load_b64 v[8:9], v1, s[2:3] offset:40
	global_load_b64 v[10:11], v1, s[2:3]
	v_mov_b64_e32 v[6:7], v[4:5]
	s_wait_loadcnt 0x1
	s_delay_alu instid0(VALU_DEP_1) | instskip(NEXT) | instid1(VALU_DEP_2)
	v_and_b32_e32 v4, v8, v6
	v_and_b32_e32 v8, v9, v7
	s_wait_loadcnt 0x0
	s_delay_alu instid0(VALU_DEP_2) | instskip(NEXT) | instid1(VALU_DEP_1)
	v_mad_nc_u64_u32 v[4:5], v4, 24, v[10:11]
	v_mad_u32 v5, v8, 24, v5
	global_load_b64 v[4:5], v[4:5], off scope:SCOPE_SYS
	s_wait_xcnt 0x0
	s_wait_loadcnt 0x0
	global_atomic_cmpswap_b64 v[4:5], v1, v[4:7], s[2:3] offset:24 th:TH_ATOMIC_RETURN scope:SCOPE_SYS
	s_wait_loadcnt 0x0
	global_inv scope:SCOPE_SYS
	v_cmp_eq_u64_e32 vcc_lo, v[4:5], v[6:7]
	s_or_b32 s9, vcc_lo, s9
	s_wait_xcnt 0x0
	s_and_not1_b32 exec_lo, exec_lo, s9
	s_cbranch_execnz .LBB8_216
; %bb.217:
	s_or_b32 exec_lo, exec_lo, s9
.LBB8_218:
	s_delay_alu instid0(SALU_CYCLE_1)
	s_or_b32 exec_lo, exec_lo, s8
.LBB8_219:
	s_delay_alu instid0(SALU_CYCLE_1)
	s_or_b32 exec_lo, exec_lo, s1
	v_readfirstlane_b32 s8, v4
	v_mov_b32_e32 v1, 0
	v_readfirstlane_b32 s9, v5
	s_mov_b32 s1, exec_lo
	s_clause 0x1
	global_load_b64 v[10:11], v1, s[2:3] offset:40
	global_load_b128 v[6:9], v1, s[2:3]
	s_wait_loadcnt 0x1
	v_and_b32_e32 v4, s8, v10
	v_and_b32_e32 v5, s9, v11
	s_delay_alu instid0(VALU_DEP_1) | instskip(SKIP_1) | instid1(VALU_DEP_1)
	v_mul_u64_e32 v[10:11], 24, v[4:5]
	s_wait_loadcnt 0x0
	v_add_nc_u64_e32 v[10:11], v[6:7], v[10:11]
	s_wait_xcnt 0x0
	s_and_saveexec_b32 s10, s0
	s_cbranch_execz .LBB8_221
; %bb.220:
	v_mov_b64_e32 v[14:15], 0x100000002
	v_dual_mov_b32 v12, s1 :: v_dual_mov_b32 v13, v1
	global_store_b128 v[10:11], v[12:15], off offset:8
.LBB8_221:
	s_wait_xcnt 0x0
	s_or_b32 exec_lo, exec_lo, s10
	v_lshlrev_b64_e32 v[4:5], 12, v[4:5]
	s_mov_b32 s12, 0
	v_and_or_b32 v2, 0xffffff1f, v2, 32
	s_mov_b32 s13, s12
	s_mov_b32 s14, s12
	;; [unrolled: 1-line block ×3, first 2 shown]
	v_mov_b64_e32 v[12:13], s[12:13]
	v_add_nc_u64_e32 v[8:9], v[8:9], v[4:5]
	v_mov_b64_e32 v[14:15], s[14:15]
	v_dual_mov_b32 v4, v1 :: v_dual_mov_b32 v5, v1
	s_delay_alu instid0(VALU_DEP_3) | instskip(NEXT) | instid1(VALU_DEP_4)
	v_readfirstlane_b32 s10, v8
	v_readfirstlane_b32 s11, v9
	s_clause 0x3
	global_store_b128 v0, v[2:5], s[10:11]
	global_store_b128 v0, v[12:15], s[10:11] offset:16
	global_store_b128 v0, v[12:15], s[10:11] offset:32
	;; [unrolled: 1-line block ×3, first 2 shown]
	s_wait_xcnt 0x0
	s_and_saveexec_b32 s1, s0
	s_cbranch_execz .LBB8_229
; %bb.222:
	v_dual_mov_b32 v12, 0 :: v_dual_mov_b32 v15, s9
	s_mov_b32 s10, exec_lo
	s_clause 0x1
	global_load_b64 v[16:17], v12, s[2:3] offset:32 scope:SCOPE_SYS
	global_load_b64 v[2:3], v12, s[2:3] offset:40
	s_wait_loadcnt 0x0
	v_dual_mov_b32 v14, s8 :: v_dual_bitop2_b32 v3, s9, v3 bitop3:0x40
	v_and_b32_e32 v2, s8, v2
	s_delay_alu instid0(VALU_DEP_1) | instskip(NEXT) | instid1(VALU_DEP_1)
	v_mul_u64_e32 v[2:3], 24, v[2:3]
	v_add_nc_u64_e32 v[6:7], v[6:7], v[2:3]
	global_store_b64 v[6:7], v[16:17], off
	global_wb scope:SCOPE_SYS
	s_wait_storecnt 0x0
	s_wait_xcnt 0x0
	global_atomic_cmpswap_b64 v[4:5], v12, v[14:17], s[2:3] offset:32 th:TH_ATOMIC_RETURN scope:SCOPE_SYS
	s_wait_loadcnt 0x0
	v_cmpx_ne_u64_e64 v[4:5], v[16:17]
	s_cbranch_execz .LBB8_225
; %bb.223:
	s_mov_b32 s11, 0
.LBB8_224:                              ; =>This Inner Loop Header: Depth=1
	v_dual_mov_b32 v2, s8 :: v_dual_mov_b32 v3, s9
	s_sleep 1
	global_store_b64 v[6:7], v[4:5], off
	global_wb scope:SCOPE_SYS
	s_wait_storecnt 0x0
	s_wait_xcnt 0x0
	global_atomic_cmpswap_b64 v[2:3], v12, v[2:5], s[2:3] offset:32 th:TH_ATOMIC_RETURN scope:SCOPE_SYS
	s_wait_loadcnt 0x0
	v_cmp_eq_u64_e32 vcc_lo, v[2:3], v[4:5]
	v_mov_b64_e32 v[4:5], v[2:3]
	s_or_b32 s11, vcc_lo, s11
	s_delay_alu instid0(SALU_CYCLE_1)
	s_and_not1_b32 exec_lo, exec_lo, s11
	s_cbranch_execnz .LBB8_224
.LBB8_225:
	s_or_b32 exec_lo, exec_lo, s10
	v_mov_b32_e32 v5, 0
	s_mov_b32 s11, exec_lo
	s_mov_b32 s10, exec_lo
	v_mbcnt_lo_u32_b32 v4, s11, 0
	global_load_b64 v[2:3], v5, s[2:3] offset:16
	s_wait_xcnt 0x0
	v_cmpx_eq_u32_e32 0, v4
	s_cbranch_execz .LBB8_227
; %bb.226:
	s_bcnt1_i32_b32 s11, s11
	s_delay_alu instid0(SALU_CYCLE_1)
	v_mov_b32_e32 v4, s11
	global_wb scope:SCOPE_SYS
	s_wait_loadcnt 0x0
	s_wait_storecnt 0x0
	global_atomic_add_u64 v[2:3], v[4:5], off offset:8 scope:SCOPE_SYS
.LBB8_227:
	s_wait_xcnt 0x0
	s_or_b32 exec_lo, exec_lo, s10
	s_wait_loadcnt 0x0
	global_load_b64 v[4:5], v[2:3], off offset:16
	s_wait_loadcnt 0x0
	v_cmp_eq_u64_e32 vcc_lo, 0, v[4:5]
	s_cbranch_vccnz .LBB8_229
; %bb.228:
	global_load_b32 v2, v[2:3], off offset:24
	s_wait_xcnt 0x0
	v_mov_b32_e32 v3, 0
	s_wait_loadcnt 0x0
	v_readfirstlane_b32 s10, v2
	global_wb scope:SCOPE_SYS
	s_wait_storecnt 0x0
	global_store_b64 v[4:5], v[2:3], off scope:SCOPE_SYS
	s_and_b32 m0, s10, 0xffffff
	s_sendmsg sendmsg(MSG_INTERRUPT)
.LBB8_229:
	s_wait_xcnt 0x0
	s_or_b32 exec_lo, exec_lo, s1
	v_add_nc_u64_e32 v[2:3], v[8:9], v[0:1]
	s_branch .LBB8_233
.LBB8_230:                              ;   in Loop: Header=BB8_233 Depth=1
	s_wait_xcnt 0x0
	s_or_b32 exec_lo, exec_lo, s1
	s_delay_alu instid0(VALU_DEP_1)
	v_readfirstlane_b32 s1, v1
	s_cmp_eq_u32 s1, 0
	s_cbranch_scc1 .LBB8_232
; %bb.231:                              ;   in Loop: Header=BB8_233 Depth=1
	s_sleep 1
	s_cbranch_execnz .LBB8_233
	s_branch .LBB8_235
.LBB8_232:
	s_branch .LBB8_235
.LBB8_233:                              ; =>This Inner Loop Header: Depth=1
	v_mov_b32_e32 v1, 1
	s_and_saveexec_b32 s1, s0
	s_cbranch_execz .LBB8_230
; %bb.234:                              ;   in Loop: Header=BB8_233 Depth=1
	global_load_b32 v1, v[10:11], off offset:20 scope:SCOPE_SYS
	s_wait_loadcnt 0x0
	global_inv scope:SCOPE_SYS
	v_and_b32_e32 v1, 1, v1
	s_branch .LBB8_230
.LBB8_235:
	global_load_b64 v[4:5], v[2:3], off
	s_wait_xcnt 0x0
	s_and_saveexec_b32 s10, s0
	s_cbranch_execz .LBB8_239
; %bb.236:
	v_mov_b32_e32 v1, 0
	s_clause 0x2
	global_load_b64 v[2:3], v1, s[2:3] offset:40
	global_load_b64 v[10:11], v1, s[2:3] offset:24 scope:SCOPE_SYS
	global_load_b64 v[6:7], v1, s[2:3]
	s_wait_loadcnt 0x2
	v_readfirstlane_b32 s12, v2
	v_readfirstlane_b32 s13, v3
	s_add_nc_u64 s[0:1], s[12:13], 1
	s_delay_alu instid0(SALU_CYCLE_1) | instskip(NEXT) | instid1(SALU_CYCLE_1)
	s_add_nc_u64 s[8:9], s[0:1], s[8:9]
	s_cmp_eq_u64 s[8:9], 0
	s_cselect_b32 s1, s1, s9
	s_cselect_b32 s0, s0, s8
	v_mov_b32_e32 v9, s1
	s_and_b64 s[8:9], s[0:1], s[12:13]
	v_mov_b32_e32 v8, s0
	s_mul_u64 s[8:9], s[8:9], 24
	s_wait_loadcnt 0x0
	v_add_nc_u64_e32 v[2:3], s[8:9], v[6:7]
	global_store_b64 v[2:3], v[10:11], off
	global_wb scope:SCOPE_SYS
	s_wait_storecnt 0x0
	s_wait_xcnt 0x0
	global_atomic_cmpswap_b64 v[8:9], v1, v[8:11], s[2:3] offset:24 th:TH_ATOMIC_RETURN scope:SCOPE_SYS
	s_wait_loadcnt 0x0
	v_cmp_ne_u64_e32 vcc_lo, v[8:9], v[10:11]
	s_and_b32 exec_lo, exec_lo, vcc_lo
	s_cbranch_execz .LBB8_239
; %bb.237:
	s_mov_b32 s8, 0
.LBB8_238:                              ; =>This Inner Loop Header: Depth=1
	v_dual_mov_b32 v6, s0 :: v_dual_mov_b32 v7, s1
	s_sleep 1
	global_store_b64 v[2:3], v[8:9], off
	global_wb scope:SCOPE_SYS
	s_wait_storecnt 0x0
	s_wait_xcnt 0x0
	global_atomic_cmpswap_b64 v[6:7], v1, v[6:9], s[2:3] offset:24 th:TH_ATOMIC_RETURN scope:SCOPE_SYS
	s_wait_loadcnt 0x0
	v_cmp_eq_u64_e32 vcc_lo, v[6:7], v[8:9]
	v_mov_b64_e32 v[8:9], v[6:7]
	s_or_b32 s8, vcc_lo, s8
	s_delay_alu instid0(SALU_CYCLE_1)
	s_and_not1_b32 exec_lo, exec_lo, s8
	s_cbranch_execnz .LBB8_238
.LBB8_239:
	s_or_b32 exec_lo, exec_lo, s10
.LBB8_240:
	v_readfirstlane_b32 s0, v29
	s_wait_loadcnt 0x0
	v_mov_b64_e32 v[2:3], 0
	s_delay_alu instid0(VALU_DEP_2)
	v_cmp_eq_u32_e64 s0, s0, v29
	s_and_saveexec_b32 s1, s0
	s_cbranch_execz .LBB8_246
; %bb.241:
	v_mov_b32_e32 v1, 0
	s_mov_b32 s8, exec_lo
	global_load_b64 v[8:9], v1, s[2:3] offset:24 scope:SCOPE_SYS
	s_wait_loadcnt 0x0
	global_inv scope:SCOPE_SYS
	s_clause 0x1
	global_load_b64 v[2:3], v1, s[2:3] offset:40
	global_load_b64 v[6:7], v1, s[2:3]
	s_wait_loadcnt 0x1
	v_and_b32_e32 v2, v2, v8
	v_and_b32_e32 v3, v3, v9
	s_delay_alu instid0(VALU_DEP_1) | instskip(SKIP_1) | instid1(VALU_DEP_1)
	v_mul_u64_e32 v[2:3], 24, v[2:3]
	s_wait_loadcnt 0x0
	v_add_nc_u64_e32 v[2:3], v[6:7], v[2:3]
	global_load_b64 v[6:7], v[2:3], off scope:SCOPE_SYS
	s_wait_xcnt 0x0
	s_wait_loadcnt 0x0
	global_atomic_cmpswap_b64 v[2:3], v1, v[6:9], s[2:3] offset:24 th:TH_ATOMIC_RETURN scope:SCOPE_SYS
	s_wait_loadcnt 0x0
	global_inv scope:SCOPE_SYS
	s_wait_xcnt 0x0
	v_cmpx_ne_u64_e64 v[2:3], v[8:9]
	s_cbranch_execz .LBB8_245
; %bb.242:
	s_mov_b32 s9, 0
.LBB8_243:                              ; =>This Inner Loop Header: Depth=1
	s_sleep 1
	s_clause 0x1
	global_load_b64 v[6:7], v1, s[2:3] offset:40
	global_load_b64 v[10:11], v1, s[2:3]
	v_mov_b64_e32 v[8:9], v[2:3]
	s_wait_loadcnt 0x1
	s_delay_alu instid0(VALU_DEP_1) | instskip(NEXT) | instid1(VALU_DEP_2)
	v_and_b32_e32 v2, v6, v8
	v_and_b32_e32 v6, v7, v9
	s_wait_loadcnt 0x0
	s_delay_alu instid0(VALU_DEP_2) | instskip(NEXT) | instid1(VALU_DEP_1)
	v_mad_nc_u64_u32 v[2:3], v2, 24, v[10:11]
	v_mad_u32 v3, v6, 24, v3
	global_load_b64 v[6:7], v[2:3], off scope:SCOPE_SYS
	s_wait_xcnt 0x0
	s_wait_loadcnt 0x0
	global_atomic_cmpswap_b64 v[2:3], v1, v[6:9], s[2:3] offset:24 th:TH_ATOMIC_RETURN scope:SCOPE_SYS
	s_wait_loadcnt 0x0
	global_inv scope:SCOPE_SYS
	v_cmp_eq_u64_e32 vcc_lo, v[2:3], v[8:9]
	s_or_b32 s9, vcc_lo, s9
	s_wait_xcnt 0x0
	s_and_not1_b32 exec_lo, exec_lo, s9
	s_cbranch_execnz .LBB8_243
; %bb.244:
	s_or_b32 exec_lo, exec_lo, s9
.LBB8_245:
	s_delay_alu instid0(SALU_CYCLE_1)
	s_or_b32 exec_lo, exec_lo, s8
.LBB8_246:
	s_delay_alu instid0(SALU_CYCLE_1)
	s_or_b32 exec_lo, exec_lo, s1
	v_readfirstlane_b32 s8, v2
	v_mov_b32_e32 v6, 0
	v_readfirstlane_b32 s9, v3
	s_mov_b32 s1, exec_lo
	s_clause 0x1
	global_load_b64 v[12:13], v6, s[2:3] offset:40
	global_load_b128 v[8:11], v6, s[2:3]
	s_wait_loadcnt 0x1
	v_and_b32_e32 v2, s8, v12
	v_and_b32_e32 v3, s9, v13
	s_delay_alu instid0(VALU_DEP_1) | instskip(SKIP_1) | instid1(VALU_DEP_1)
	v_mul_u64_e32 v[12:13], 24, v[2:3]
	s_wait_loadcnt 0x0
	v_add_nc_u64_e32 v[12:13], v[8:9], v[12:13]
	s_wait_xcnt 0x0
	s_and_saveexec_b32 s10, s0
	s_cbranch_execz .LBB8_248
; %bb.247:
	v_mov_b64_e32 v[16:17], 0x100000002
	v_dual_mov_b32 v14, s1 :: v_dual_mov_b32 v15, v6
	global_store_b128 v[12:13], v[14:17], off offset:8
.LBB8_248:
	s_wait_xcnt 0x0
	s_or_b32 exec_lo, exec_lo, s10
	v_lshlrev_b64_e32 v[2:3], 12, v[2:3]
	s_mov_b32 s12, 0
	v_and_or_b32 v4, 0xffffff1d, v4, 34
	s_mov_b32 s14, s12
	s_mov_b32 s15, s12
	;; [unrolled: 1-line block ×3, first 2 shown]
	v_mov_b64_e32 v[16:17], s[14:15]
	v_add_nc_u64_e32 v[2:3], v[10:11], v[2:3]
	v_mov_b64_e32 v[14:15], s[12:13]
	v_mov_b32_e32 v7, v6
	s_delay_alu instid0(VALU_DEP_3) | instskip(NEXT) | instid1(VALU_DEP_4)
	v_readfirstlane_b32 s10, v2
	v_readfirstlane_b32 s11, v3
	s_clause 0x3
	global_store_b128 v0, v[4:7], s[10:11]
	global_store_b128 v0, v[14:17], s[10:11] offset:16
	global_store_b128 v0, v[14:17], s[10:11] offset:32
	;; [unrolled: 1-line block ×3, first 2 shown]
	s_wait_xcnt 0x0
	s_and_saveexec_b32 s1, s0
	s_cbranch_execz .LBB8_256
; %bb.249:
	v_mov_b32_e32 v1, 0
	s_mov_b32 s10, exec_lo
	s_clause 0x1
	global_load_b64 v[10:11], v1, s[2:3] offset:32 scope:SCOPE_SYS
	global_load_b64 v[2:3], v1, s[2:3] offset:40
	s_wait_loadcnt 0x0
	v_and_b32_e32 v2, s8, v2
	v_and_b32_e32 v3, s9, v3
	s_delay_alu instid0(VALU_DEP_1) | instskip(NEXT) | instid1(VALU_DEP_1)
	v_mul_u64_e32 v[2:3], 24, v[2:3]
	v_add_nc_u64_e32 v[6:7], v[8:9], v[2:3]
	v_dual_mov_b32 v8, s8 :: v_dual_mov_b32 v9, s9
	global_store_b64 v[6:7], v[10:11], off
	global_wb scope:SCOPE_SYS
	s_wait_storecnt 0x0
	s_wait_xcnt 0x0
	global_atomic_cmpswap_b64 v[4:5], v1, v[8:11], s[2:3] offset:32 th:TH_ATOMIC_RETURN scope:SCOPE_SYS
	s_wait_loadcnt 0x0
	v_cmpx_ne_u64_e64 v[4:5], v[10:11]
	s_cbranch_execz .LBB8_252
; %bb.250:
	s_mov_b32 s11, 0
.LBB8_251:                              ; =>This Inner Loop Header: Depth=1
	v_dual_mov_b32 v2, s8 :: v_dual_mov_b32 v3, s9
	s_sleep 1
	global_store_b64 v[6:7], v[4:5], off
	global_wb scope:SCOPE_SYS
	s_wait_storecnt 0x0
	s_wait_xcnt 0x0
	global_atomic_cmpswap_b64 v[2:3], v1, v[2:5], s[2:3] offset:32 th:TH_ATOMIC_RETURN scope:SCOPE_SYS
	s_wait_loadcnt 0x0
	v_cmp_eq_u64_e32 vcc_lo, v[2:3], v[4:5]
	v_mov_b64_e32 v[4:5], v[2:3]
	s_or_b32 s11, vcc_lo, s11
	s_delay_alu instid0(SALU_CYCLE_1)
	s_and_not1_b32 exec_lo, exec_lo, s11
	s_cbranch_execnz .LBB8_251
.LBB8_252:
	s_or_b32 exec_lo, exec_lo, s10
	v_mov_b32_e32 v5, 0
	s_mov_b32 s11, exec_lo
	s_mov_b32 s10, exec_lo
	v_mbcnt_lo_u32_b32 v1, s11, 0
	global_load_b64 v[2:3], v5, s[2:3] offset:16
	s_wait_xcnt 0x0
	v_cmpx_eq_u32_e32 0, v1
	s_cbranch_execz .LBB8_254
; %bb.253:
	s_bcnt1_i32_b32 s11, s11
	s_delay_alu instid0(SALU_CYCLE_1)
	v_mov_b32_e32 v4, s11
	global_wb scope:SCOPE_SYS
	s_wait_loadcnt 0x0
	s_wait_storecnt 0x0
	global_atomic_add_u64 v[2:3], v[4:5], off offset:8 scope:SCOPE_SYS
.LBB8_254:
	s_wait_xcnt 0x0
	s_or_b32 exec_lo, exec_lo, s10
	s_wait_loadcnt 0x0
	global_load_b64 v[4:5], v[2:3], off offset:16
	s_wait_loadcnt 0x0
	v_cmp_eq_u64_e32 vcc_lo, 0, v[4:5]
	s_cbranch_vccnz .LBB8_256
; %bb.255:
	global_load_b32 v2, v[2:3], off offset:24
	s_wait_xcnt 0x0
	v_mov_b32_e32 v3, 0
	s_wait_loadcnt 0x0
	v_readfirstlane_b32 s10, v2
	global_wb scope:SCOPE_SYS
	s_wait_storecnt 0x0
	global_store_b64 v[4:5], v[2:3], off scope:SCOPE_SYS
	s_and_b32 m0, s10, 0xffffff
	s_sendmsg sendmsg(MSG_INTERRUPT)
.LBB8_256:
	s_wait_xcnt 0x0
	s_or_b32 exec_lo, exec_lo, s1
	s_branch .LBB8_260
.LBB8_257:                              ;   in Loop: Header=BB8_260 Depth=1
	s_wait_xcnt 0x0
	s_or_b32 exec_lo, exec_lo, s1
	s_delay_alu instid0(VALU_DEP_1)
	v_readfirstlane_b32 s1, v1
	s_cmp_eq_u32 s1, 0
	s_cbranch_scc1 .LBB8_259
; %bb.258:                              ;   in Loop: Header=BB8_260 Depth=1
	s_sleep 1
	s_cbranch_execnz .LBB8_260
	s_branch .LBB8_262
.LBB8_259:
	s_branch .LBB8_262
.LBB8_260:                              ; =>This Inner Loop Header: Depth=1
	v_mov_b32_e32 v1, 1
	s_and_saveexec_b32 s1, s0
	s_cbranch_execz .LBB8_257
; %bb.261:                              ;   in Loop: Header=BB8_260 Depth=1
	global_load_b32 v1, v[12:13], off offset:20 scope:SCOPE_SYS
	s_wait_loadcnt 0x0
	global_inv scope:SCOPE_SYS
	v_and_b32_e32 v1, 1, v1
	s_branch .LBB8_257
.LBB8_262:
	s_and_saveexec_b32 s10, s0
	s_cbranch_execz .LBB8_266
; %bb.263:
	v_mov_b32_e32 v1, 0
	s_clause 0x2
	global_load_b64 v[2:3], v1, s[2:3] offset:40
	global_load_b64 v[10:11], v1, s[2:3] offset:24 scope:SCOPE_SYS
	global_load_b64 v[4:5], v1, s[2:3]
	s_wait_loadcnt 0x2
	v_readfirstlane_b32 s12, v2
	v_readfirstlane_b32 s13, v3
	s_add_nc_u64 s[0:1], s[12:13], 1
	s_delay_alu instid0(SALU_CYCLE_1) | instskip(NEXT) | instid1(SALU_CYCLE_1)
	s_add_nc_u64 s[8:9], s[0:1], s[8:9]
	s_cmp_eq_u64 s[8:9], 0
	s_cselect_b32 s1, s1, s9
	s_cselect_b32 s0, s0, s8
	v_mov_b32_e32 v9, s1
	s_and_b64 s[8:9], s[0:1], s[12:13]
	v_mov_b32_e32 v8, s0
	s_mul_u64 s[8:9], s[8:9], 24
	s_wait_loadcnt 0x0
	v_add_nc_u64_e32 v[6:7], s[8:9], v[4:5]
	global_store_b64 v[6:7], v[10:11], off
	global_wb scope:SCOPE_SYS
	s_wait_storecnt 0x0
	s_wait_xcnt 0x0
	global_atomic_cmpswap_b64 v[4:5], v1, v[8:11], s[2:3] offset:24 th:TH_ATOMIC_RETURN scope:SCOPE_SYS
	s_wait_loadcnt 0x0
	v_cmp_ne_u64_e32 vcc_lo, v[4:5], v[10:11]
	s_and_b32 exec_lo, exec_lo, vcc_lo
	s_cbranch_execz .LBB8_266
; %bb.264:
	s_mov_b32 s8, 0
.LBB8_265:                              ; =>This Inner Loop Header: Depth=1
	v_dual_mov_b32 v2, s0 :: v_dual_mov_b32 v3, s1
	s_sleep 1
	global_store_b64 v[6:7], v[4:5], off
	global_wb scope:SCOPE_SYS
	s_wait_storecnt 0x0
	s_wait_xcnt 0x0
	global_atomic_cmpswap_b64 v[2:3], v1, v[2:5], s[2:3] offset:24 th:TH_ATOMIC_RETURN scope:SCOPE_SYS
	s_wait_loadcnt 0x0
	v_cmp_eq_u64_e32 vcc_lo, v[2:3], v[4:5]
	v_mov_b64_e32 v[4:5], v[2:3]
	s_or_b32 s8, vcc_lo, s8
	s_delay_alu instid0(SALU_CYCLE_1)
	s_and_not1_b32 exec_lo, exec_lo, s8
	s_cbranch_execnz .LBB8_265
.LBB8_266:
	s_or_b32 exec_lo, exec_lo, s10
	v_readfirstlane_b32 s0, v29
	v_mov_b64_e32 v[6:7], 0
	s_wait_loadcnt 0x0
	s_wait_storecnt 0x0
	s_barrier_signal -1
	s_barrier_wait -1
	v_cmp_eq_u32_e64 s0, s0, v29
	s_and_saveexec_b32 s1, s0
	s_cbranch_execz .LBB8_272
; %bb.267:
	v_mov_b32_e32 v1, 0
	s_mov_b32 s8, exec_lo
	global_load_b64 v[4:5], v1, s[2:3] offset:24 scope:SCOPE_SYS
	s_wait_loadcnt 0x0
	global_inv scope:SCOPE_SYS
	s_clause 0x1
	global_load_b64 v[2:3], v1, s[2:3] offset:40
	global_load_b64 v[6:7], v1, s[2:3]
	s_wait_loadcnt 0x1
	v_and_b32_e32 v2, v2, v4
	v_and_b32_e32 v3, v3, v5
	s_delay_alu instid0(VALU_DEP_1) | instskip(SKIP_1) | instid1(VALU_DEP_1)
	v_mul_u64_e32 v[2:3], 24, v[2:3]
	s_wait_loadcnt 0x0
	v_add_nc_u64_e32 v[2:3], v[6:7], v[2:3]
	global_load_b64 v[2:3], v[2:3], off scope:SCOPE_SYS
	s_wait_xcnt 0x0
	s_wait_loadcnt 0x0
	global_atomic_cmpswap_b64 v[6:7], v1, v[2:5], s[2:3] offset:24 th:TH_ATOMIC_RETURN scope:SCOPE_SYS
	s_wait_loadcnt 0x0
	global_inv scope:SCOPE_SYS
	s_wait_xcnt 0x0
	v_cmpx_ne_u64_e64 v[6:7], v[4:5]
	s_cbranch_execz .LBB8_271
; %bb.268:
	s_mov_b32 s9, 0
.LBB8_269:                              ; =>This Inner Loop Header: Depth=1
	s_sleep 1
	s_clause 0x1
	global_load_b64 v[2:3], v1, s[2:3] offset:40
	global_load_b64 v[8:9], v1, s[2:3]
	v_mov_b64_e32 v[4:5], v[6:7]
	s_wait_loadcnt 0x1
	s_delay_alu instid0(VALU_DEP_1) | instskip(SKIP_1) | instid1(VALU_DEP_1)
	v_and_b32_e32 v2, v2, v4
	s_wait_loadcnt 0x0
	v_mad_nc_u64_u32 v[6:7], v2, 24, v[8:9]
	s_delay_alu instid0(VALU_DEP_3) | instskip(NEXT) | instid1(VALU_DEP_1)
	v_and_b32_e32 v2, v3, v5
	v_mad_u32 v7, v2, 24, v7
	global_load_b64 v[2:3], v[6:7], off scope:SCOPE_SYS
	s_wait_xcnt 0x0
	s_wait_loadcnt 0x0
	global_atomic_cmpswap_b64 v[6:7], v1, v[2:5], s[2:3] offset:24 th:TH_ATOMIC_RETURN scope:SCOPE_SYS
	s_wait_loadcnt 0x0
	global_inv scope:SCOPE_SYS
	v_cmp_eq_u64_e32 vcc_lo, v[6:7], v[4:5]
	s_or_b32 s9, vcc_lo, s9
	s_wait_xcnt 0x0
	s_and_not1_b32 exec_lo, exec_lo, s9
	s_cbranch_execnz .LBB8_269
; %bb.270:
	s_or_b32 exec_lo, exec_lo, s9
.LBB8_271:
	s_delay_alu instid0(SALU_CYCLE_1)
	s_or_b32 exec_lo, exec_lo, s8
.LBB8_272:
	s_delay_alu instid0(SALU_CYCLE_1)
	s_or_b32 exec_lo, exec_lo, s1
	v_readfirstlane_b32 s8, v6
	v_mov_b32_e32 v1, 0
	v_readfirstlane_b32 s9, v7
	s_mov_b32 s1, exec_lo
	s_clause 0x1
	global_load_b64 v[8:9], v1, s[2:3] offset:40
	global_load_b128 v[2:5], v1, s[2:3]
	s_wait_loadcnt 0x1
	v_and_b32_e32 v8, s8, v8
	v_and_b32_e32 v9, s9, v9
	s_delay_alu instid0(VALU_DEP_1) | instskip(SKIP_1) | instid1(VALU_DEP_1)
	v_mul_u64_e32 v[6:7], 24, v[8:9]
	s_wait_loadcnt 0x0
	v_add_nc_u64_e32 v[6:7], v[2:3], v[6:7]
	s_and_saveexec_b32 s10, s0
	s_cbranch_execz .LBB8_274
; %bb.273:
	v_mov_b64_e32 v[12:13], 0x100000002
	v_dual_mov_b32 v10, s1 :: v_dual_mov_b32 v11, v1
	global_store_b128 v[6:7], v[10:13], off offset:8
.LBB8_274:
	s_wait_xcnt 0x0
	s_or_b32 exec_lo, exec_lo, s10
	v_lshlrev_b64_e32 v[8:9], 12, v[8:9]
	s_mov_b32 s12, 0
	v_dual_mov_b32 v10, 33 :: v_dual_mov_b32 v11, v1
	s_mov_b32 s14, s12
	s_mov_b32 s15, s12
	;; [unrolled: 1-line block ×3, first 2 shown]
	s_delay_alu instid0(VALU_DEP_2) | instskip(SKIP_3) | instid1(VALU_DEP_4)
	v_add_nc_u64_e32 v[8:9], v[4:5], v[8:9]
	v_mov_b64_e32 v[16:17], s[14:15]
	v_mov_b64_e32 v[14:15], s[12:13]
	v_dual_mov_b32 v12, v1 :: v_dual_mov_b32 v13, v1
	v_readfirstlane_b32 s10, v8
	v_readfirstlane_b32 s11, v9
	s_clause 0x3
	global_store_b128 v0, v[10:13], s[10:11]
	global_store_b128 v0, v[14:17], s[10:11] offset:16
	global_store_b128 v0, v[14:17], s[10:11] offset:32
	;; [unrolled: 1-line block ×3, first 2 shown]
	s_wait_xcnt 0x0
	s_and_saveexec_b32 s1, s0
	s_cbranch_execz .LBB8_282
; %bb.275:
	v_dual_mov_b32 v12, 0 :: v_dual_mov_b32 v15, s9
	s_mov_b32 s10, exec_lo
	s_clause 0x1
	global_load_b64 v[16:17], v12, s[2:3] offset:32 scope:SCOPE_SYS
	global_load_b64 v[4:5], v12, s[2:3] offset:40
	s_wait_loadcnt 0x0
	v_dual_mov_b32 v14, s8 :: v_dual_bitop2_b32 v5, s9, v5 bitop3:0x40
	v_and_b32_e32 v4, s8, v4
	s_delay_alu instid0(VALU_DEP_1) | instskip(NEXT) | instid1(VALU_DEP_1)
	v_mul_u64_e32 v[4:5], 24, v[4:5]
	v_add_nc_u64_e32 v[10:11], v[2:3], v[4:5]
	global_store_b64 v[10:11], v[16:17], off
	global_wb scope:SCOPE_SYS
	s_wait_storecnt 0x0
	s_wait_xcnt 0x0
	global_atomic_cmpswap_b64 v[4:5], v12, v[14:17], s[2:3] offset:32 th:TH_ATOMIC_RETURN scope:SCOPE_SYS
	s_wait_loadcnt 0x0
	v_cmpx_ne_u64_e64 v[4:5], v[16:17]
	s_cbranch_execz .LBB8_278
; %bb.276:
	s_mov_b32 s11, 0
.LBB8_277:                              ; =>This Inner Loop Header: Depth=1
	v_dual_mov_b32 v2, s8 :: v_dual_mov_b32 v3, s9
	s_sleep 1
	global_store_b64 v[10:11], v[4:5], off
	global_wb scope:SCOPE_SYS
	s_wait_storecnt 0x0
	s_wait_xcnt 0x0
	global_atomic_cmpswap_b64 v[2:3], v12, v[2:5], s[2:3] offset:32 th:TH_ATOMIC_RETURN scope:SCOPE_SYS
	s_wait_loadcnt 0x0
	v_cmp_eq_u64_e32 vcc_lo, v[2:3], v[4:5]
	v_mov_b64_e32 v[4:5], v[2:3]
	s_or_b32 s11, vcc_lo, s11
	s_delay_alu instid0(SALU_CYCLE_1)
	s_and_not1_b32 exec_lo, exec_lo, s11
	s_cbranch_execnz .LBB8_277
.LBB8_278:
	s_or_b32 exec_lo, exec_lo, s10
	v_mov_b32_e32 v5, 0
	s_mov_b32 s11, exec_lo
	s_mov_b32 s10, exec_lo
	v_mbcnt_lo_u32_b32 v4, s11, 0
	global_load_b64 v[2:3], v5, s[2:3] offset:16
	s_wait_xcnt 0x0
	v_cmpx_eq_u32_e32 0, v4
	s_cbranch_execz .LBB8_280
; %bb.279:
	s_bcnt1_i32_b32 s11, s11
	s_delay_alu instid0(SALU_CYCLE_1)
	v_mov_b32_e32 v4, s11
	global_wb scope:SCOPE_SYS
	s_wait_loadcnt 0x0
	s_wait_storecnt 0x0
	global_atomic_add_u64 v[2:3], v[4:5], off offset:8 scope:SCOPE_SYS
.LBB8_280:
	s_wait_xcnt 0x0
	s_or_b32 exec_lo, exec_lo, s10
	s_wait_loadcnt 0x0
	global_load_b64 v[4:5], v[2:3], off offset:16
	s_wait_loadcnt 0x0
	v_cmp_eq_u64_e32 vcc_lo, 0, v[4:5]
	s_cbranch_vccnz .LBB8_282
; %bb.281:
	global_load_b32 v2, v[2:3], off offset:24
	s_wait_xcnt 0x0
	v_mov_b32_e32 v3, 0
	s_wait_loadcnt 0x0
	v_readfirstlane_b32 s10, v2
	global_wb scope:SCOPE_SYS
	s_wait_storecnt 0x0
	global_store_b64 v[4:5], v[2:3], off scope:SCOPE_SYS
	s_and_b32 m0, s10, 0xffffff
	s_sendmsg sendmsg(MSG_INTERRUPT)
.LBB8_282:
	s_wait_xcnt 0x0
	s_or_b32 exec_lo, exec_lo, s1
	v_add_nc_u64_e32 v[2:3], v[8:9], v[0:1]
	s_branch .LBB8_286
.LBB8_283:                              ;   in Loop: Header=BB8_286 Depth=1
	s_wait_xcnt 0x0
	s_or_b32 exec_lo, exec_lo, s1
	s_delay_alu instid0(VALU_DEP_1)
	v_readfirstlane_b32 s1, v1
	s_cmp_eq_u32 s1, 0
	s_cbranch_scc1 .LBB8_285
; %bb.284:                              ;   in Loop: Header=BB8_286 Depth=1
	s_sleep 1
	s_cbranch_execnz .LBB8_286
	s_branch .LBB8_288
.LBB8_285:
	s_branch .LBB8_288
.LBB8_286:                              ; =>This Inner Loop Header: Depth=1
	v_mov_b32_e32 v1, 1
	s_and_saveexec_b32 s1, s0
	s_cbranch_execz .LBB8_283
; %bb.287:                              ;   in Loop: Header=BB8_286 Depth=1
	global_load_b32 v1, v[6:7], off offset:20 scope:SCOPE_SYS
	s_wait_loadcnt 0x0
	global_inv scope:SCOPE_SYS
	v_and_b32_e32 v1, 1, v1
	s_branch .LBB8_283
.LBB8_288:
	global_load_b64 v[6:7], v[2:3], off
	s_wait_xcnt 0x0
	s_and_saveexec_b32 s10, s0
	s_cbranch_execz .LBB8_292
; %bb.289:
	v_mov_b32_e32 v1, 0
	s_clause 0x2
	global_load_b64 v[2:3], v1, s[2:3] offset:40
	global_load_b64 v[12:13], v1, s[2:3] offset:24 scope:SCOPE_SYS
	global_load_b64 v[4:5], v1, s[2:3]
	s_wait_loadcnt 0x2
	v_readfirstlane_b32 s12, v2
	v_readfirstlane_b32 s13, v3
	s_add_nc_u64 s[0:1], s[12:13], 1
	s_delay_alu instid0(SALU_CYCLE_1) | instskip(NEXT) | instid1(SALU_CYCLE_1)
	s_add_nc_u64 s[8:9], s[0:1], s[8:9]
	s_cmp_eq_u64 s[8:9], 0
	s_cselect_b32 s1, s1, s9
	s_cselect_b32 s0, s0, s8
	v_mov_b32_e32 v11, s1
	s_and_b64 s[8:9], s[0:1], s[12:13]
	v_mov_b32_e32 v10, s0
	s_mul_u64 s[8:9], s[8:9], 24
	s_wait_loadcnt 0x0
	v_add_nc_u64_e32 v[8:9], s[8:9], v[4:5]
	global_store_b64 v[8:9], v[12:13], off
	global_wb scope:SCOPE_SYS
	s_wait_storecnt 0x0
	s_wait_xcnt 0x0
	global_atomic_cmpswap_b64 v[4:5], v1, v[10:13], s[2:3] offset:24 th:TH_ATOMIC_RETURN scope:SCOPE_SYS
	s_wait_loadcnt 0x0
	v_cmp_ne_u64_e32 vcc_lo, v[4:5], v[12:13]
	s_and_b32 exec_lo, exec_lo, vcc_lo
	s_cbranch_execz .LBB8_292
; %bb.290:
	s_mov_b32 s8, 0
.LBB8_291:                              ; =>This Inner Loop Header: Depth=1
	v_dual_mov_b32 v2, s0 :: v_dual_mov_b32 v3, s1
	s_sleep 1
	global_store_b64 v[8:9], v[4:5], off
	global_wb scope:SCOPE_SYS
	s_wait_storecnt 0x0
	s_wait_xcnt 0x0
	global_atomic_cmpswap_b64 v[2:3], v1, v[2:5], s[2:3] offset:24 th:TH_ATOMIC_RETURN scope:SCOPE_SYS
	s_wait_loadcnt 0x0
	v_cmp_eq_u64_e32 vcc_lo, v[2:3], v[4:5]
	v_mov_b64_e32 v[4:5], v[2:3]
	s_or_b32 s8, vcc_lo, s8
	s_delay_alu instid0(SALU_CYCLE_1)
	s_and_not1_b32 exec_lo, exec_lo, s8
	s_cbranch_execnz .LBB8_291
.LBB8_292:
	s_or_b32 exec_lo, exec_lo, s10
	s_delay_alu instid0(SALU_CYCLE_1)
	s_and_b32 vcc_lo, exec_lo, s18
	s_cbranch_vccz .LBB8_450
; %bb.293:
	v_mov_b64_e32 v[10:11], 0x100000002
	s_wait_loadcnt 0x0
	v_dual_mov_b32 v9, 0 :: v_dual_bitop2_b32 v28, 2, v6 bitop3:0x40
	v_dual_mov_b32 v3, v7 :: v_dual_bitop2_b32 v2, -3, v6 bitop3:0x40
	s_mov_b64 s[10:11], 6
	s_get_pc_i64 s[8:9]
	s_add_nc_u64 s[8:9], s[8:9], .str.7@rel64+4
	s_branch .LBB8_295
.LBB8_294:                              ;   in Loop: Header=BB8_295 Depth=1
	s_or_b32 exec_lo, exec_lo, s16
	s_sub_nc_u64 s[10:11], s[10:11], s[12:13]
	s_add_nc_u64 s[8:9], s[8:9], s[12:13]
	s_cmp_lg_u64 s[10:11], 0
	s_cbranch_scc0 .LBB8_370
.LBB8_295:                              ; =>This Loop Header: Depth=1
                                        ;     Child Loop BB8_298 Depth 2
                                        ;     Child Loop BB8_305 Depth 2
	;; [unrolled: 1-line block ×11, first 2 shown]
	v_min_u64 v[4:5], s[10:11], 56
	v_cmp_gt_u64_e64 s0, s[10:11], 7
	s_and_b32 vcc_lo, exec_lo, s0
	v_readfirstlane_b32 s12, v4
	v_readfirstlane_b32 s13, v5
	s_cbranch_vccnz .LBB8_300
; %bb.296:                              ;   in Loop: Header=BB8_295 Depth=1
	v_mov_b64_e32 v[4:5], 0
	s_cmp_eq_u64 s[10:11], 0
	s_cbranch_scc1 .LBB8_299
; %bb.297:                              ;   in Loop: Header=BB8_295 Depth=1
	s_mov_b64 s[0:1], 0
	s_mov_b64 s[14:15], 0
.LBB8_298:                              ;   Parent Loop BB8_295 Depth=1
                                        ; =>  This Inner Loop Header: Depth=2
	s_wait_xcnt 0x0
	s_add_nc_u64 s[16:17], s[8:9], s[14:15]
	s_add_nc_u64 s[14:15], s[14:15], 1
	global_load_u8 v1, v9, s[16:17]
	s_cmp_lg_u32 s12, s14
	s_wait_loadcnt 0x0
	v_and_b32_e32 v8, 0xffff, v1
	s_delay_alu instid0(VALU_DEP_1) | instskip(SKIP_1) | instid1(VALU_DEP_1)
	v_lshlrev_b64_e32 v[12:13], s0, v[8:9]
	s_add_nc_u64 s[0:1], s[0:1], 8
	v_or_b32_e32 v4, v12, v4
	s_delay_alu instid0(VALU_DEP_2)
	v_or_b32_e32 v5, v13, v5
	s_cbranch_scc1 .LBB8_298
.LBB8_299:                              ;   in Loop: Header=BB8_295 Depth=1
	s_mov_b64 s[14:15], s[8:9]
	s_mov_b32 s20, 0
	s_cbranch_execz .LBB8_301
	s_branch .LBB8_302
.LBB8_300:                              ;   in Loop: Header=BB8_295 Depth=1
	s_add_nc_u64 s[14:15], s[8:9], 8
	s_mov_b32 s20, 0
.LBB8_301:                              ;   in Loop: Header=BB8_295 Depth=1
	global_load_b64 v[4:5], v9, s[8:9]
	s_add_co_i32 s20, s12, -8
.LBB8_302:                              ;   in Loop: Header=BB8_295 Depth=1
	s_delay_alu instid0(SALU_CYCLE_1)
	s_cmp_gt_u32 s20, 7
	s_cbranch_scc1 .LBB8_307
; %bb.303:                              ;   in Loop: Header=BB8_295 Depth=1
	v_mov_b64_e32 v[12:13], 0
	s_cmp_eq_u32 s20, 0
	s_cbranch_scc1 .LBB8_306
; %bb.304:                              ;   in Loop: Header=BB8_295 Depth=1
	s_mov_b64 s[0:1], 0
	s_wait_xcnt 0x0
	s_mov_b64 s[16:17], 0
.LBB8_305:                              ;   Parent Loop BB8_295 Depth=1
                                        ; =>  This Inner Loop Header: Depth=2
	s_wait_xcnt 0x0
	s_add_nc_u64 s[22:23], s[14:15], s[16:17]
	s_add_nc_u64 s[16:17], s[16:17], 1
	global_load_u8 v1, v9, s[22:23]
	s_cmp_lg_u32 s20, s16
	s_wait_loadcnt 0x0
	v_and_b32_e32 v8, 0xffff, v1
	s_delay_alu instid0(VALU_DEP_1) | instskip(SKIP_1) | instid1(VALU_DEP_1)
	v_lshlrev_b64_e32 v[14:15], s0, v[8:9]
	s_add_nc_u64 s[0:1], s[0:1], 8
	v_or_b32_e32 v12, v14, v12
	s_delay_alu instid0(VALU_DEP_2)
	v_or_b32_e32 v13, v15, v13
	s_cbranch_scc1 .LBB8_305
.LBB8_306:                              ;   in Loop: Header=BB8_295 Depth=1
	s_wait_xcnt 0x0
	s_mov_b64 s[0:1], s[14:15]
	s_mov_b32 s21, 0
	s_cbranch_execz .LBB8_308
	s_branch .LBB8_309
.LBB8_307:                              ;   in Loop: Header=BB8_295 Depth=1
	s_add_nc_u64 s[0:1], s[14:15], 8
	s_wait_xcnt 0x0
                                        ; implicit-def: $vgpr12_vgpr13
	s_mov_b32 s21, 0
.LBB8_308:                              ;   in Loop: Header=BB8_295 Depth=1
	global_load_b64 v[12:13], v9, s[14:15]
	s_add_co_i32 s21, s20, -8
.LBB8_309:                              ;   in Loop: Header=BB8_295 Depth=1
	s_delay_alu instid0(SALU_CYCLE_1)
	s_cmp_gt_u32 s21, 7
	s_cbranch_scc1 .LBB8_314
; %bb.310:                              ;   in Loop: Header=BB8_295 Depth=1
	v_mov_b64_e32 v[14:15], 0
	s_cmp_eq_u32 s21, 0
	s_cbranch_scc1 .LBB8_313
; %bb.311:                              ;   in Loop: Header=BB8_295 Depth=1
	s_wait_xcnt 0x0
	s_mov_b64 s[14:15], 0
	s_mov_b64 s[16:17], 0
.LBB8_312:                              ;   Parent Loop BB8_295 Depth=1
                                        ; =>  This Inner Loop Header: Depth=2
	s_wait_xcnt 0x0
	s_add_nc_u64 s[22:23], s[0:1], s[16:17]
	s_add_nc_u64 s[16:17], s[16:17], 1
	global_load_u8 v1, v9, s[22:23]
	s_cmp_lg_u32 s21, s16
	s_wait_loadcnt 0x0
	v_and_b32_e32 v8, 0xffff, v1
	s_delay_alu instid0(VALU_DEP_1) | instskip(SKIP_1) | instid1(VALU_DEP_1)
	v_lshlrev_b64_e32 v[16:17], s14, v[8:9]
	s_add_nc_u64 s[14:15], s[14:15], 8
	v_or_b32_e32 v14, v16, v14
	s_delay_alu instid0(VALU_DEP_2)
	v_or_b32_e32 v15, v17, v15
	s_cbranch_scc1 .LBB8_312
.LBB8_313:                              ;   in Loop: Header=BB8_295 Depth=1
	s_wait_xcnt 0x0
	s_mov_b64 s[14:15], s[0:1]
	s_mov_b32 s20, 0
	s_cbranch_execz .LBB8_315
	s_branch .LBB8_316
.LBB8_314:                              ;   in Loop: Header=BB8_295 Depth=1
	s_wait_xcnt 0x0
	s_add_nc_u64 s[14:15], s[0:1], 8
	s_mov_b32 s20, 0
.LBB8_315:                              ;   in Loop: Header=BB8_295 Depth=1
	global_load_b64 v[14:15], v9, s[0:1]
	s_add_co_i32 s20, s21, -8
.LBB8_316:                              ;   in Loop: Header=BB8_295 Depth=1
	s_delay_alu instid0(SALU_CYCLE_1)
	s_cmp_gt_u32 s20, 7
	s_cbranch_scc1 .LBB8_321
; %bb.317:                              ;   in Loop: Header=BB8_295 Depth=1
	v_mov_b64_e32 v[16:17], 0
	s_cmp_eq_u32 s20, 0
	s_cbranch_scc1 .LBB8_320
; %bb.318:                              ;   in Loop: Header=BB8_295 Depth=1
	s_wait_xcnt 0x0
	s_mov_b64 s[0:1], 0
	s_mov_b64 s[16:17], 0
.LBB8_319:                              ;   Parent Loop BB8_295 Depth=1
                                        ; =>  This Inner Loop Header: Depth=2
	s_wait_xcnt 0x0
	s_add_nc_u64 s[22:23], s[14:15], s[16:17]
	s_add_nc_u64 s[16:17], s[16:17], 1
	global_load_u8 v1, v9, s[22:23]
	s_cmp_lg_u32 s20, s16
	s_wait_loadcnt 0x0
	v_and_b32_e32 v8, 0xffff, v1
	s_delay_alu instid0(VALU_DEP_1) | instskip(SKIP_1) | instid1(VALU_DEP_1)
	v_lshlrev_b64_e32 v[18:19], s0, v[8:9]
	s_add_nc_u64 s[0:1], s[0:1], 8
	v_or_b32_e32 v16, v18, v16
	s_delay_alu instid0(VALU_DEP_2)
	v_or_b32_e32 v17, v19, v17
	s_cbranch_scc1 .LBB8_319
.LBB8_320:                              ;   in Loop: Header=BB8_295 Depth=1
	s_wait_xcnt 0x0
	s_mov_b64 s[0:1], s[14:15]
	s_mov_b32 s21, 0
	s_cbranch_execz .LBB8_322
	s_branch .LBB8_323
.LBB8_321:                              ;   in Loop: Header=BB8_295 Depth=1
	s_wait_xcnt 0x0
	s_add_nc_u64 s[0:1], s[14:15], 8
                                        ; implicit-def: $vgpr16_vgpr17
	s_mov_b32 s21, 0
.LBB8_322:                              ;   in Loop: Header=BB8_295 Depth=1
	global_load_b64 v[16:17], v9, s[14:15]
	s_add_co_i32 s21, s20, -8
.LBB8_323:                              ;   in Loop: Header=BB8_295 Depth=1
	s_delay_alu instid0(SALU_CYCLE_1)
	s_cmp_gt_u32 s21, 7
	s_cbranch_scc1 .LBB8_328
; %bb.324:                              ;   in Loop: Header=BB8_295 Depth=1
	v_mov_b64_e32 v[18:19], 0
	s_cmp_eq_u32 s21, 0
	s_cbranch_scc1 .LBB8_327
; %bb.325:                              ;   in Loop: Header=BB8_295 Depth=1
	s_wait_xcnt 0x0
	s_mov_b64 s[14:15], 0
	s_mov_b64 s[16:17], 0
.LBB8_326:                              ;   Parent Loop BB8_295 Depth=1
                                        ; =>  This Inner Loop Header: Depth=2
	s_wait_xcnt 0x0
	s_add_nc_u64 s[22:23], s[0:1], s[16:17]
	s_add_nc_u64 s[16:17], s[16:17], 1
	global_load_u8 v1, v9, s[22:23]
	s_cmp_lg_u32 s21, s16
	s_wait_loadcnt 0x0
	v_and_b32_e32 v8, 0xffff, v1
	s_delay_alu instid0(VALU_DEP_1) | instskip(SKIP_1) | instid1(VALU_DEP_1)
	v_lshlrev_b64_e32 v[20:21], s14, v[8:9]
	s_add_nc_u64 s[14:15], s[14:15], 8
	v_or_b32_e32 v18, v20, v18
	s_delay_alu instid0(VALU_DEP_2)
	v_or_b32_e32 v19, v21, v19
	s_cbranch_scc1 .LBB8_326
.LBB8_327:                              ;   in Loop: Header=BB8_295 Depth=1
	s_wait_xcnt 0x0
	s_mov_b64 s[14:15], s[0:1]
	s_mov_b32 s20, 0
	s_cbranch_execz .LBB8_329
	s_branch .LBB8_330
.LBB8_328:                              ;   in Loop: Header=BB8_295 Depth=1
	s_wait_xcnt 0x0
	s_add_nc_u64 s[14:15], s[0:1], 8
	s_mov_b32 s20, 0
.LBB8_329:                              ;   in Loop: Header=BB8_295 Depth=1
	global_load_b64 v[18:19], v9, s[0:1]
	s_add_co_i32 s20, s21, -8
.LBB8_330:                              ;   in Loop: Header=BB8_295 Depth=1
	s_delay_alu instid0(SALU_CYCLE_1)
	s_cmp_gt_u32 s20, 7
	s_cbranch_scc1 .LBB8_335
; %bb.331:                              ;   in Loop: Header=BB8_295 Depth=1
	v_mov_b64_e32 v[20:21], 0
	s_cmp_eq_u32 s20, 0
	s_cbranch_scc1 .LBB8_334
; %bb.332:                              ;   in Loop: Header=BB8_295 Depth=1
	s_wait_xcnt 0x0
	s_mov_b64 s[0:1], 0
	s_mov_b64 s[16:17], 0
.LBB8_333:                              ;   Parent Loop BB8_295 Depth=1
                                        ; =>  This Inner Loop Header: Depth=2
	s_wait_xcnt 0x0
	s_add_nc_u64 s[22:23], s[14:15], s[16:17]
	s_add_nc_u64 s[16:17], s[16:17], 1
	global_load_u8 v1, v9, s[22:23]
	s_cmp_lg_u32 s20, s16
	s_wait_loadcnt 0x0
	v_and_b32_e32 v8, 0xffff, v1
	s_delay_alu instid0(VALU_DEP_1) | instskip(SKIP_1) | instid1(VALU_DEP_1)
	v_lshlrev_b64_e32 v[22:23], s0, v[8:9]
	s_add_nc_u64 s[0:1], s[0:1], 8
	v_or_b32_e32 v20, v22, v20
	s_delay_alu instid0(VALU_DEP_2)
	v_or_b32_e32 v21, v23, v21
	s_cbranch_scc1 .LBB8_333
.LBB8_334:                              ;   in Loop: Header=BB8_295 Depth=1
	s_wait_xcnt 0x0
	s_mov_b64 s[0:1], s[14:15]
	s_mov_b32 s21, 0
	s_cbranch_execz .LBB8_336
	s_branch .LBB8_337
.LBB8_335:                              ;   in Loop: Header=BB8_295 Depth=1
	s_wait_xcnt 0x0
	s_add_nc_u64 s[0:1], s[14:15], 8
                                        ; implicit-def: $vgpr20_vgpr21
	s_mov_b32 s21, 0
.LBB8_336:                              ;   in Loop: Header=BB8_295 Depth=1
	global_load_b64 v[20:21], v9, s[14:15]
	s_add_co_i32 s21, s20, -8
.LBB8_337:                              ;   in Loop: Header=BB8_295 Depth=1
	s_delay_alu instid0(SALU_CYCLE_1)
	s_cmp_gt_u32 s21, 7
	s_cbranch_scc1 .LBB8_342
; %bb.338:                              ;   in Loop: Header=BB8_295 Depth=1
	v_mov_b64_e32 v[22:23], 0
	s_cmp_eq_u32 s21, 0
	s_cbranch_scc1 .LBB8_341
; %bb.339:                              ;   in Loop: Header=BB8_295 Depth=1
	s_wait_xcnt 0x0
	s_mov_b64 s[14:15], 0
	s_mov_b64 s[16:17], s[0:1]
.LBB8_340:                              ;   Parent Loop BB8_295 Depth=1
                                        ; =>  This Inner Loop Header: Depth=2
	global_load_u8 v1, v9, s[16:17]
	s_add_co_i32 s21, s21, -1
	s_wait_xcnt 0x0
	s_add_nc_u64 s[16:17], s[16:17], 1
	s_cmp_lg_u32 s21, 0
	s_wait_loadcnt 0x0
	v_and_b32_e32 v8, 0xffff, v1
	s_delay_alu instid0(VALU_DEP_1) | instskip(SKIP_1) | instid1(VALU_DEP_1)
	v_lshlrev_b64_e32 v[24:25], s14, v[8:9]
	s_add_nc_u64 s[14:15], s[14:15], 8
	v_or_b32_e32 v22, v24, v22
	s_delay_alu instid0(VALU_DEP_2)
	v_or_b32_e32 v23, v25, v23
	s_cbranch_scc1 .LBB8_340
.LBB8_341:                              ;   in Loop: Header=BB8_295 Depth=1
	s_wait_xcnt 0x0
	s_cbranch_execz .LBB8_343
	s_branch .LBB8_344
.LBB8_342:                              ;   in Loop: Header=BB8_295 Depth=1
	s_wait_xcnt 0x0
.LBB8_343:                              ;   in Loop: Header=BB8_295 Depth=1
	global_load_b64 v[22:23], v9, s[0:1]
.LBB8_344:                              ;   in Loop: Header=BB8_295 Depth=1
	s_wait_xcnt 0x0
	v_readfirstlane_b32 s0, v29
	v_mov_b64_e32 v[30:31], 0
	s_delay_alu instid0(VALU_DEP_2)
	v_cmp_eq_u32_e64 s0, s0, v29
	s_and_saveexec_b32 s1, s0
	s_cbranch_execz .LBB8_350
; %bb.345:                              ;   in Loop: Header=BB8_295 Depth=1
	global_load_b64 v[26:27], v9, s[2:3] offset:24 scope:SCOPE_SYS
	s_wait_loadcnt 0x0
	global_inv scope:SCOPE_SYS
	s_clause 0x1
	global_load_b64 v[24:25], v9, s[2:3] offset:40
	global_load_b64 v[30:31], v9, s[2:3]
	s_mov_b32 s14, exec_lo
	s_wait_loadcnt 0x1
	v_and_b32_e32 v24, v24, v26
	v_and_b32_e32 v25, v25, v27
	s_delay_alu instid0(VALU_DEP_1) | instskip(SKIP_1) | instid1(VALU_DEP_1)
	v_mul_u64_e32 v[24:25], 24, v[24:25]
	s_wait_loadcnt 0x0
	v_add_nc_u64_e32 v[24:25], v[30:31], v[24:25]
	global_load_b64 v[24:25], v[24:25], off scope:SCOPE_SYS
	s_wait_xcnt 0x0
	s_wait_loadcnt 0x0
	global_atomic_cmpswap_b64 v[30:31], v9, v[24:27], s[2:3] offset:24 th:TH_ATOMIC_RETURN scope:SCOPE_SYS
	s_wait_loadcnt 0x0
	global_inv scope:SCOPE_SYS
	s_wait_xcnt 0x0
	v_cmpx_ne_u64_e64 v[30:31], v[26:27]
	s_cbranch_execz .LBB8_349
; %bb.346:                              ;   in Loop: Header=BB8_295 Depth=1
	s_mov_b32 s15, 0
.LBB8_347:                              ;   Parent Loop BB8_295 Depth=1
                                        ; =>  This Inner Loop Header: Depth=2
	s_sleep 1
	s_clause 0x1
	global_load_b64 v[24:25], v9, s[2:3] offset:40
	global_load_b64 v[32:33], v9, s[2:3]
	v_mov_b64_e32 v[26:27], v[30:31]
	s_wait_loadcnt 0x1
	s_delay_alu instid0(VALU_DEP_1) | instskip(SKIP_1) | instid1(VALU_DEP_1)
	v_and_b32_e32 v1, v24, v26
	s_wait_loadcnt 0x0
	v_mad_nc_u64_u32 v[30:31], v1, 24, v[32:33]
	s_delay_alu instid0(VALU_DEP_3) | instskip(NEXT) | instid1(VALU_DEP_1)
	v_and_b32_e32 v1, v25, v27
	v_mad_u32 v31, v1, 24, v31
	global_load_b64 v[24:25], v[30:31], off scope:SCOPE_SYS
	s_wait_xcnt 0x0
	s_wait_loadcnt 0x0
	global_atomic_cmpswap_b64 v[30:31], v9, v[24:27], s[2:3] offset:24 th:TH_ATOMIC_RETURN scope:SCOPE_SYS
	s_wait_loadcnt 0x0
	global_inv scope:SCOPE_SYS
	v_cmp_eq_u64_e32 vcc_lo, v[30:31], v[26:27]
	s_or_b32 s15, vcc_lo, s15
	s_wait_xcnt 0x0
	s_and_not1_b32 exec_lo, exec_lo, s15
	s_cbranch_execnz .LBB8_347
; %bb.348:                              ;   in Loop: Header=BB8_295 Depth=1
	s_or_b32 exec_lo, exec_lo, s15
.LBB8_349:                              ;   in Loop: Header=BB8_295 Depth=1
	s_delay_alu instid0(SALU_CYCLE_1)
	s_or_b32 exec_lo, exec_lo, s14
.LBB8_350:                              ;   in Loop: Header=BB8_295 Depth=1
	s_delay_alu instid0(SALU_CYCLE_1)
	s_or_b32 exec_lo, exec_lo, s1
	s_clause 0x1
	global_load_b64 v[32:33], v9, s[2:3] offset:40
	global_load_b128 v[24:27], v9, s[2:3]
	v_readfirstlane_b32 s14, v30
	v_readfirstlane_b32 s15, v31
	s_mov_b32 s1, exec_lo
	s_wait_loadcnt 0x1
	v_and_b32_e32 v32, s14, v32
	v_and_b32_e32 v33, s15, v33
	s_delay_alu instid0(VALU_DEP_1) | instskip(SKIP_1) | instid1(VALU_DEP_1)
	v_mul_u64_e32 v[30:31], 24, v[32:33]
	s_wait_loadcnt 0x0
	v_add_nc_u64_e32 v[30:31], v[24:25], v[30:31]
	s_wait_xcnt 0x0
	s_and_saveexec_b32 s16, s0
	s_cbranch_execz .LBB8_352
; %bb.351:                              ;   in Loop: Header=BB8_295 Depth=1
	v_mov_b32_e32 v8, s1
	global_store_b128 v[30:31], v[8:11], off offset:8
.LBB8_352:                              ;   in Loop: Header=BB8_295 Depth=1
	s_wait_xcnt 0x0
	s_or_b32 exec_lo, exec_lo, s16
	v_cmp_lt_u64_e64 vcc_lo, s[10:11], 57
	v_lshlrev_b64_e32 v[32:33], 12, v[32:33]
	v_and_b32_e32 v2, 0xffffff1f, v2
	s_lshl_b32 s1, s12, 2
	s_delay_alu instid0(SALU_CYCLE_1) | instskip(SKIP_1) | instid1(VALU_DEP_3)
	s_add_co_i32 s1, s1, 28
	v_cndmask_b32_e32 v1, 0, v28, vcc_lo
	v_add_nc_u64_e32 v[26:27], v[26:27], v[32:33]
	s_delay_alu instid0(VALU_DEP_2) | instskip(NEXT) | instid1(VALU_DEP_2)
	v_or_b32_e32 v1, v2, v1
	v_readfirstlane_b32 s16, v26
	s_delay_alu instid0(VALU_DEP_3) | instskip(NEXT) | instid1(VALU_DEP_3)
	v_readfirstlane_b32 s17, v27
	v_and_or_b32 v2, 0x1e0, s1, v1
	s_clause 0x3
	global_store_b128 v0, v[2:5], s[16:17]
	global_store_b128 v0, v[12:15], s[16:17] offset:16
	global_store_b128 v0, v[16:19], s[16:17] offset:32
	;; [unrolled: 1-line block ×3, first 2 shown]
	s_wait_xcnt 0x0
	s_and_saveexec_b32 s1, s0
	s_cbranch_execz .LBB8_360
; %bb.353:                              ;   in Loop: Header=BB8_295 Depth=1
	s_clause 0x1
	global_load_b64 v[16:17], v9, s[2:3] offset:32 scope:SCOPE_SYS
	global_load_b64 v[2:3], v9, s[2:3] offset:40
	s_mov_b32 s16, exec_lo
	v_dual_mov_b32 v14, s14 :: v_dual_mov_b32 v15, s15
	s_wait_loadcnt 0x0
	v_and_b32_e32 v3, s15, v3
	v_and_b32_e32 v2, s14, v2
	s_delay_alu instid0(VALU_DEP_1) | instskip(NEXT) | instid1(VALU_DEP_1)
	v_mul_u64_e32 v[2:3], 24, v[2:3]
	v_add_nc_u64_e32 v[12:13], v[24:25], v[2:3]
	global_store_b64 v[12:13], v[16:17], off
	global_wb scope:SCOPE_SYS
	s_wait_storecnt 0x0
	s_wait_xcnt 0x0
	global_atomic_cmpswap_b64 v[4:5], v9, v[14:17], s[2:3] offset:32 th:TH_ATOMIC_RETURN scope:SCOPE_SYS
	s_wait_loadcnt 0x0
	v_cmpx_ne_u64_e64 v[4:5], v[16:17]
	s_cbranch_execz .LBB8_356
; %bb.354:                              ;   in Loop: Header=BB8_295 Depth=1
	s_mov_b32 s17, 0
.LBB8_355:                              ;   Parent Loop BB8_295 Depth=1
                                        ; =>  This Inner Loop Header: Depth=2
	v_dual_mov_b32 v2, s14 :: v_dual_mov_b32 v3, s15
	s_sleep 1
	global_store_b64 v[12:13], v[4:5], off
	global_wb scope:SCOPE_SYS
	s_wait_storecnt 0x0
	s_wait_xcnt 0x0
	global_atomic_cmpswap_b64 v[2:3], v9, v[2:5], s[2:3] offset:32 th:TH_ATOMIC_RETURN scope:SCOPE_SYS
	s_wait_loadcnt 0x0
	v_cmp_eq_u64_e32 vcc_lo, v[2:3], v[4:5]
	v_mov_b64_e32 v[4:5], v[2:3]
	s_or_b32 s17, vcc_lo, s17
	s_delay_alu instid0(SALU_CYCLE_1)
	s_and_not1_b32 exec_lo, exec_lo, s17
	s_cbranch_execnz .LBB8_355
.LBB8_356:                              ;   in Loop: Header=BB8_295 Depth=1
	s_or_b32 exec_lo, exec_lo, s16
	global_load_b64 v[2:3], v9, s[2:3] offset:16
	s_mov_b32 s17, exec_lo
	s_mov_b32 s16, exec_lo
	v_mbcnt_lo_u32_b32 v1, s17, 0
	s_wait_xcnt 0x0
	s_delay_alu instid0(VALU_DEP_1)
	v_cmpx_eq_u32_e32 0, v1
	s_cbranch_execz .LBB8_358
; %bb.357:                              ;   in Loop: Header=BB8_295 Depth=1
	s_bcnt1_i32_b32 s17, s17
	s_delay_alu instid0(SALU_CYCLE_1)
	v_mov_b32_e32 v8, s17
	global_wb scope:SCOPE_SYS
	s_wait_loadcnt 0x0
	s_wait_storecnt 0x0
	global_atomic_add_u64 v[2:3], v[8:9], off offset:8 scope:SCOPE_SYS
.LBB8_358:                              ;   in Loop: Header=BB8_295 Depth=1
	s_wait_xcnt 0x0
	s_or_b32 exec_lo, exec_lo, s16
	s_wait_loadcnt 0x0
	global_load_b64 v[4:5], v[2:3], off offset:16
	s_wait_loadcnt 0x0
	v_cmp_eq_u64_e32 vcc_lo, 0, v[4:5]
	s_cbranch_vccnz .LBB8_360
; %bb.359:                              ;   in Loop: Header=BB8_295 Depth=1
	global_load_b32 v8, v[2:3], off offset:24
	s_wait_loadcnt 0x0
	v_readfirstlane_b32 s16, v8
	global_wb scope:SCOPE_SYS
	s_wait_storecnt 0x0
	s_wait_xcnt 0x0
	global_store_b64 v[4:5], v[8:9], off scope:SCOPE_SYS
	s_and_b32 m0, s16, 0xffffff
	s_sendmsg sendmsg(MSG_INTERRUPT)
.LBB8_360:                              ;   in Loop: Header=BB8_295 Depth=1
	s_wait_xcnt 0x0
	s_or_b32 exec_lo, exec_lo, s1
	v_mov_b32_e32 v1, v9
	s_delay_alu instid0(VALU_DEP_1)
	v_add_nc_u64_e32 v[2:3], v[26:27], v[0:1]
	s_branch .LBB8_364
.LBB8_361:                              ;   in Loop: Header=BB8_364 Depth=2
	s_wait_xcnt 0x0
	s_or_b32 exec_lo, exec_lo, s1
	s_delay_alu instid0(VALU_DEP_1)
	v_readfirstlane_b32 s1, v1
	s_cmp_eq_u32 s1, 0
	s_cbranch_scc1 .LBB8_363
; %bb.362:                              ;   in Loop: Header=BB8_364 Depth=2
	s_sleep 1
	s_cbranch_execnz .LBB8_364
	s_branch .LBB8_366
.LBB8_363:                              ;   in Loop: Header=BB8_295 Depth=1
	s_branch .LBB8_366
.LBB8_364:                              ;   Parent Loop BB8_295 Depth=1
                                        ; =>  This Inner Loop Header: Depth=2
	v_mov_b32_e32 v1, 1
	s_and_saveexec_b32 s1, s0
	s_cbranch_execz .LBB8_361
; %bb.365:                              ;   in Loop: Header=BB8_364 Depth=2
	global_load_b32 v1, v[30:31], off offset:20 scope:SCOPE_SYS
	s_wait_loadcnt 0x0
	global_inv scope:SCOPE_SYS
	v_and_b32_e32 v1, 1, v1
	s_branch .LBB8_361
.LBB8_366:                              ;   in Loop: Header=BB8_295 Depth=1
	global_load_b64 v[2:3], v[2:3], off
	s_wait_xcnt 0x0
	s_and_saveexec_b32 s16, s0
	s_cbranch_execz .LBB8_294
; %bb.367:                              ;   in Loop: Header=BB8_295 Depth=1
	s_clause 0x2
	global_load_b64 v[4:5], v9, s[2:3] offset:40
	global_load_b64 v[16:17], v9, s[2:3] offset:24 scope:SCOPE_SYS
	global_load_b64 v[12:13], v9, s[2:3]
	s_wait_loadcnt 0x2
	v_readfirstlane_b32 s20, v4
	v_readfirstlane_b32 s21, v5
	s_add_nc_u64 s[0:1], s[20:21], 1
	s_delay_alu instid0(SALU_CYCLE_1) | instskip(NEXT) | instid1(SALU_CYCLE_1)
	s_add_nc_u64 s[14:15], s[0:1], s[14:15]
	s_cmp_eq_u64 s[14:15], 0
	s_cselect_b32 s1, s1, s15
	s_cselect_b32 s0, s0, s14
	s_delay_alu instid0(SALU_CYCLE_1) | instskip(SKIP_1) | instid1(SALU_CYCLE_1)
	v_dual_mov_b32 v15, s1 :: v_dual_mov_b32 v14, s0
	s_and_b64 s[14:15], s[0:1], s[20:21]
	s_mul_u64 s[14:15], s[14:15], 24
	s_wait_loadcnt 0x0
	v_add_nc_u64_e32 v[4:5], s[14:15], v[12:13]
	global_store_b64 v[4:5], v[16:17], off
	global_wb scope:SCOPE_SYS
	s_wait_storecnt 0x0
	s_wait_xcnt 0x0
	global_atomic_cmpswap_b64 v[14:15], v9, v[14:17], s[2:3] offset:24 th:TH_ATOMIC_RETURN scope:SCOPE_SYS
	s_wait_loadcnt 0x0
	v_cmp_ne_u64_e32 vcc_lo, v[14:15], v[16:17]
	s_and_b32 exec_lo, exec_lo, vcc_lo
	s_cbranch_execz .LBB8_294
; %bb.368:                              ;   in Loop: Header=BB8_295 Depth=1
	s_mov_b32 s14, 0
.LBB8_369:                              ;   Parent Loop BB8_295 Depth=1
                                        ; =>  This Inner Loop Header: Depth=2
	v_dual_mov_b32 v12, s0 :: v_dual_mov_b32 v13, s1
	s_sleep 1
	global_store_b64 v[4:5], v[14:15], off
	global_wb scope:SCOPE_SYS
	s_wait_storecnt 0x0
	s_wait_xcnt 0x0
	global_atomic_cmpswap_b64 v[12:13], v9, v[12:15], s[2:3] offset:24 th:TH_ATOMIC_RETURN scope:SCOPE_SYS
	s_wait_loadcnt 0x0
	v_cmp_eq_u64_e32 vcc_lo, v[12:13], v[14:15]
	v_mov_b64_e32 v[14:15], v[12:13]
	s_or_b32 s14, vcc_lo, s14
	s_delay_alu instid0(SALU_CYCLE_1)
	s_and_not1_b32 exec_lo, exec_lo, s14
	s_cbranch_execnz .LBB8_369
	s_branch .LBB8_294
.LBB8_370:
.LBB8_371:
	s_and_b32 vcc_lo, exec_lo, s19
	s_cbranch_vccz .LBB8_478
.LBB8_372:
	v_mov_b64_e32 v[10:11], 0x100000002
	s_wait_loadcnt 0x0
	v_dual_mov_b32 v9, 0 :: v_dual_bitop2_b32 v28, 2, v2 bitop3:0x40
	v_dual_mov_b32 v5, v3 :: v_dual_bitop2_b32 v4, -3, v2 bitop3:0x40
	s_mov_b64 s[10:11], 52
	s_get_pc_i64 s[8:9]
	s_add_nc_u64 s[8:9], s[8:9], .str.10@rel64+4
	s_branch .LBB8_374
.LBB8_373:                              ;   in Loop: Header=BB8_374 Depth=1
	s_or_b32 exec_lo, exec_lo, s16
	s_sub_nc_u64 s[10:11], s[10:11], s[12:13]
	s_add_nc_u64 s[8:9], s[8:9], s[12:13]
	s_cmp_lg_u64 s[10:11], 0
	s_cbranch_scc0 .LBB8_449
.LBB8_374:                              ; =>This Loop Header: Depth=1
                                        ;     Child Loop BB8_377 Depth 2
                                        ;     Child Loop BB8_384 Depth 2
	;; [unrolled: 1-line block ×11, first 2 shown]
	v_min_u64 v[6:7], s[10:11], 56
	v_cmp_gt_u64_e64 s0, s[10:11], 7
	s_and_b32 vcc_lo, exec_lo, s0
	v_readfirstlane_b32 s12, v6
	v_readfirstlane_b32 s13, v7
	s_cbranch_vccnz .LBB8_379
; %bb.375:                              ;   in Loop: Header=BB8_374 Depth=1
	v_mov_b64_e32 v[6:7], 0
	s_cmp_eq_u64 s[10:11], 0
	s_cbranch_scc1 .LBB8_378
; %bb.376:                              ;   in Loop: Header=BB8_374 Depth=1
	s_mov_b64 s[0:1], 0
	s_mov_b64 s[14:15], 0
.LBB8_377:                              ;   Parent Loop BB8_374 Depth=1
                                        ; =>  This Inner Loop Header: Depth=2
	s_wait_xcnt 0x0
	s_add_nc_u64 s[16:17], s[8:9], s[14:15]
	s_add_nc_u64 s[14:15], s[14:15], 1
	global_load_u8 v1, v9, s[16:17]
	s_cmp_lg_u32 s12, s14
	s_wait_loadcnt 0x0
	v_and_b32_e32 v8, 0xffff, v1
	s_delay_alu instid0(VALU_DEP_1) | instskip(SKIP_1) | instid1(VALU_DEP_1)
	v_lshlrev_b64_e32 v[12:13], s0, v[8:9]
	s_add_nc_u64 s[0:1], s[0:1], 8
	v_or_b32_e32 v6, v12, v6
	s_delay_alu instid0(VALU_DEP_2)
	v_or_b32_e32 v7, v13, v7
	s_cbranch_scc1 .LBB8_377
.LBB8_378:                              ;   in Loop: Header=BB8_374 Depth=1
	s_mov_b64 s[14:15], s[8:9]
	s_mov_b32 s20, 0
	s_cbranch_execz .LBB8_380
	s_branch .LBB8_381
.LBB8_379:                              ;   in Loop: Header=BB8_374 Depth=1
	s_add_nc_u64 s[14:15], s[8:9], 8
	s_mov_b32 s20, 0
.LBB8_380:                              ;   in Loop: Header=BB8_374 Depth=1
	global_load_b64 v[6:7], v9, s[8:9]
	s_add_co_i32 s20, s12, -8
.LBB8_381:                              ;   in Loop: Header=BB8_374 Depth=1
	s_delay_alu instid0(SALU_CYCLE_1)
	s_cmp_gt_u32 s20, 7
	s_cbranch_scc1 .LBB8_386
; %bb.382:                              ;   in Loop: Header=BB8_374 Depth=1
	v_mov_b64_e32 v[12:13], 0
	s_cmp_eq_u32 s20, 0
	s_cbranch_scc1 .LBB8_385
; %bb.383:                              ;   in Loop: Header=BB8_374 Depth=1
	s_mov_b64 s[0:1], 0
	s_wait_xcnt 0x0
	s_mov_b64 s[16:17], 0
.LBB8_384:                              ;   Parent Loop BB8_374 Depth=1
                                        ; =>  This Inner Loop Header: Depth=2
	s_wait_xcnt 0x0
	s_add_nc_u64 s[22:23], s[14:15], s[16:17]
	s_add_nc_u64 s[16:17], s[16:17], 1
	global_load_u8 v1, v9, s[22:23]
	s_cmp_lg_u32 s20, s16
	s_wait_loadcnt 0x0
	v_and_b32_e32 v8, 0xffff, v1
	s_delay_alu instid0(VALU_DEP_1) | instskip(SKIP_1) | instid1(VALU_DEP_1)
	v_lshlrev_b64_e32 v[14:15], s0, v[8:9]
	s_add_nc_u64 s[0:1], s[0:1], 8
	v_or_b32_e32 v12, v14, v12
	s_delay_alu instid0(VALU_DEP_2)
	v_or_b32_e32 v13, v15, v13
	s_cbranch_scc1 .LBB8_384
.LBB8_385:                              ;   in Loop: Header=BB8_374 Depth=1
	s_wait_xcnt 0x0
	s_mov_b64 s[0:1], s[14:15]
	s_mov_b32 s21, 0
	s_cbranch_execz .LBB8_387
	s_branch .LBB8_388
.LBB8_386:                              ;   in Loop: Header=BB8_374 Depth=1
	s_add_nc_u64 s[0:1], s[14:15], 8
	s_wait_xcnt 0x0
                                        ; implicit-def: $vgpr12_vgpr13
	s_mov_b32 s21, 0
.LBB8_387:                              ;   in Loop: Header=BB8_374 Depth=1
	global_load_b64 v[12:13], v9, s[14:15]
	s_add_co_i32 s21, s20, -8
.LBB8_388:                              ;   in Loop: Header=BB8_374 Depth=1
	s_delay_alu instid0(SALU_CYCLE_1)
	s_cmp_gt_u32 s21, 7
	s_cbranch_scc1 .LBB8_393
; %bb.389:                              ;   in Loop: Header=BB8_374 Depth=1
	v_mov_b64_e32 v[14:15], 0
	s_cmp_eq_u32 s21, 0
	s_cbranch_scc1 .LBB8_392
; %bb.390:                              ;   in Loop: Header=BB8_374 Depth=1
	s_wait_xcnt 0x0
	s_mov_b64 s[14:15], 0
	s_mov_b64 s[16:17], 0
.LBB8_391:                              ;   Parent Loop BB8_374 Depth=1
                                        ; =>  This Inner Loop Header: Depth=2
	s_wait_xcnt 0x0
	s_add_nc_u64 s[22:23], s[0:1], s[16:17]
	s_add_nc_u64 s[16:17], s[16:17], 1
	global_load_u8 v1, v9, s[22:23]
	s_cmp_lg_u32 s21, s16
	s_wait_loadcnt 0x0
	v_and_b32_e32 v8, 0xffff, v1
	s_delay_alu instid0(VALU_DEP_1) | instskip(SKIP_1) | instid1(VALU_DEP_1)
	v_lshlrev_b64_e32 v[16:17], s14, v[8:9]
	s_add_nc_u64 s[14:15], s[14:15], 8
	v_or_b32_e32 v14, v16, v14
	s_delay_alu instid0(VALU_DEP_2)
	v_or_b32_e32 v15, v17, v15
	s_cbranch_scc1 .LBB8_391
.LBB8_392:                              ;   in Loop: Header=BB8_374 Depth=1
	s_wait_xcnt 0x0
	s_mov_b64 s[14:15], s[0:1]
	s_mov_b32 s20, 0
	s_cbranch_execz .LBB8_394
	s_branch .LBB8_395
.LBB8_393:                              ;   in Loop: Header=BB8_374 Depth=1
	s_wait_xcnt 0x0
	s_add_nc_u64 s[14:15], s[0:1], 8
	s_mov_b32 s20, 0
.LBB8_394:                              ;   in Loop: Header=BB8_374 Depth=1
	global_load_b64 v[14:15], v9, s[0:1]
	s_add_co_i32 s20, s21, -8
.LBB8_395:                              ;   in Loop: Header=BB8_374 Depth=1
	s_delay_alu instid0(SALU_CYCLE_1)
	s_cmp_gt_u32 s20, 7
	s_cbranch_scc1 .LBB8_400
; %bb.396:                              ;   in Loop: Header=BB8_374 Depth=1
	v_mov_b64_e32 v[16:17], 0
	s_cmp_eq_u32 s20, 0
	s_cbranch_scc1 .LBB8_399
; %bb.397:                              ;   in Loop: Header=BB8_374 Depth=1
	s_wait_xcnt 0x0
	s_mov_b64 s[0:1], 0
	s_mov_b64 s[16:17], 0
.LBB8_398:                              ;   Parent Loop BB8_374 Depth=1
                                        ; =>  This Inner Loop Header: Depth=2
	s_wait_xcnt 0x0
	s_add_nc_u64 s[22:23], s[14:15], s[16:17]
	s_add_nc_u64 s[16:17], s[16:17], 1
	global_load_u8 v1, v9, s[22:23]
	s_cmp_lg_u32 s20, s16
	s_wait_loadcnt 0x0
	v_and_b32_e32 v8, 0xffff, v1
	s_delay_alu instid0(VALU_DEP_1) | instskip(SKIP_1) | instid1(VALU_DEP_1)
	v_lshlrev_b64_e32 v[18:19], s0, v[8:9]
	s_add_nc_u64 s[0:1], s[0:1], 8
	v_or_b32_e32 v16, v18, v16
	s_delay_alu instid0(VALU_DEP_2)
	v_or_b32_e32 v17, v19, v17
	s_cbranch_scc1 .LBB8_398
.LBB8_399:                              ;   in Loop: Header=BB8_374 Depth=1
	s_wait_xcnt 0x0
	s_mov_b64 s[0:1], s[14:15]
	s_mov_b32 s21, 0
	s_cbranch_execz .LBB8_401
	s_branch .LBB8_402
.LBB8_400:                              ;   in Loop: Header=BB8_374 Depth=1
	s_wait_xcnt 0x0
	s_add_nc_u64 s[0:1], s[14:15], 8
                                        ; implicit-def: $vgpr16_vgpr17
	s_mov_b32 s21, 0
.LBB8_401:                              ;   in Loop: Header=BB8_374 Depth=1
	global_load_b64 v[16:17], v9, s[14:15]
	s_add_co_i32 s21, s20, -8
.LBB8_402:                              ;   in Loop: Header=BB8_374 Depth=1
	s_delay_alu instid0(SALU_CYCLE_1)
	s_cmp_gt_u32 s21, 7
	s_cbranch_scc1 .LBB8_407
; %bb.403:                              ;   in Loop: Header=BB8_374 Depth=1
	v_mov_b64_e32 v[18:19], 0
	s_cmp_eq_u32 s21, 0
	s_cbranch_scc1 .LBB8_406
; %bb.404:                              ;   in Loop: Header=BB8_374 Depth=1
	s_wait_xcnt 0x0
	s_mov_b64 s[14:15], 0
	s_mov_b64 s[16:17], 0
.LBB8_405:                              ;   Parent Loop BB8_374 Depth=1
                                        ; =>  This Inner Loop Header: Depth=2
	s_wait_xcnt 0x0
	s_add_nc_u64 s[22:23], s[0:1], s[16:17]
	s_add_nc_u64 s[16:17], s[16:17], 1
	global_load_u8 v1, v9, s[22:23]
	s_cmp_lg_u32 s21, s16
	s_wait_loadcnt 0x0
	v_and_b32_e32 v8, 0xffff, v1
	s_delay_alu instid0(VALU_DEP_1) | instskip(SKIP_1) | instid1(VALU_DEP_1)
	v_lshlrev_b64_e32 v[20:21], s14, v[8:9]
	s_add_nc_u64 s[14:15], s[14:15], 8
	v_or_b32_e32 v18, v20, v18
	s_delay_alu instid0(VALU_DEP_2)
	v_or_b32_e32 v19, v21, v19
	s_cbranch_scc1 .LBB8_405
.LBB8_406:                              ;   in Loop: Header=BB8_374 Depth=1
	s_wait_xcnt 0x0
	s_mov_b64 s[14:15], s[0:1]
	s_mov_b32 s20, 0
	s_cbranch_execz .LBB8_408
	s_branch .LBB8_409
.LBB8_407:                              ;   in Loop: Header=BB8_374 Depth=1
	s_wait_xcnt 0x0
	s_add_nc_u64 s[14:15], s[0:1], 8
	s_mov_b32 s20, 0
.LBB8_408:                              ;   in Loop: Header=BB8_374 Depth=1
	global_load_b64 v[18:19], v9, s[0:1]
	s_add_co_i32 s20, s21, -8
.LBB8_409:                              ;   in Loop: Header=BB8_374 Depth=1
	s_delay_alu instid0(SALU_CYCLE_1)
	s_cmp_gt_u32 s20, 7
	s_cbranch_scc1 .LBB8_414
; %bb.410:                              ;   in Loop: Header=BB8_374 Depth=1
	v_mov_b64_e32 v[20:21], 0
	s_cmp_eq_u32 s20, 0
	s_cbranch_scc1 .LBB8_413
; %bb.411:                              ;   in Loop: Header=BB8_374 Depth=1
	s_wait_xcnt 0x0
	s_mov_b64 s[0:1], 0
	s_mov_b64 s[16:17], 0
.LBB8_412:                              ;   Parent Loop BB8_374 Depth=1
                                        ; =>  This Inner Loop Header: Depth=2
	s_wait_xcnt 0x0
	s_add_nc_u64 s[22:23], s[14:15], s[16:17]
	s_add_nc_u64 s[16:17], s[16:17], 1
	global_load_u8 v1, v9, s[22:23]
	s_cmp_lg_u32 s20, s16
	s_wait_loadcnt 0x0
	v_and_b32_e32 v8, 0xffff, v1
	s_delay_alu instid0(VALU_DEP_1) | instskip(SKIP_1) | instid1(VALU_DEP_1)
	v_lshlrev_b64_e32 v[22:23], s0, v[8:9]
	s_add_nc_u64 s[0:1], s[0:1], 8
	v_or_b32_e32 v20, v22, v20
	s_delay_alu instid0(VALU_DEP_2)
	v_or_b32_e32 v21, v23, v21
	s_cbranch_scc1 .LBB8_412
.LBB8_413:                              ;   in Loop: Header=BB8_374 Depth=1
	s_wait_xcnt 0x0
	s_mov_b64 s[0:1], s[14:15]
	s_mov_b32 s21, 0
	s_cbranch_execz .LBB8_415
	s_branch .LBB8_416
.LBB8_414:                              ;   in Loop: Header=BB8_374 Depth=1
	s_wait_xcnt 0x0
	s_add_nc_u64 s[0:1], s[14:15], 8
                                        ; implicit-def: $vgpr20_vgpr21
	s_mov_b32 s21, 0
.LBB8_415:                              ;   in Loop: Header=BB8_374 Depth=1
	global_load_b64 v[20:21], v9, s[14:15]
	s_add_co_i32 s21, s20, -8
.LBB8_416:                              ;   in Loop: Header=BB8_374 Depth=1
	s_delay_alu instid0(SALU_CYCLE_1)
	s_cmp_gt_u32 s21, 7
	s_cbranch_scc1 .LBB8_421
; %bb.417:                              ;   in Loop: Header=BB8_374 Depth=1
	v_mov_b64_e32 v[22:23], 0
	s_cmp_eq_u32 s21, 0
	s_cbranch_scc1 .LBB8_420
; %bb.418:                              ;   in Loop: Header=BB8_374 Depth=1
	s_wait_xcnt 0x0
	s_mov_b64 s[14:15], 0
	s_mov_b64 s[16:17], s[0:1]
.LBB8_419:                              ;   Parent Loop BB8_374 Depth=1
                                        ; =>  This Inner Loop Header: Depth=2
	global_load_u8 v1, v9, s[16:17]
	s_add_co_i32 s21, s21, -1
	s_wait_xcnt 0x0
	s_add_nc_u64 s[16:17], s[16:17], 1
	s_cmp_lg_u32 s21, 0
	s_wait_loadcnt 0x0
	v_and_b32_e32 v8, 0xffff, v1
	s_delay_alu instid0(VALU_DEP_1) | instskip(SKIP_1) | instid1(VALU_DEP_1)
	v_lshlrev_b64_e32 v[24:25], s14, v[8:9]
	s_add_nc_u64 s[14:15], s[14:15], 8
	v_or_b32_e32 v22, v24, v22
	s_delay_alu instid0(VALU_DEP_2)
	v_or_b32_e32 v23, v25, v23
	s_cbranch_scc1 .LBB8_419
.LBB8_420:                              ;   in Loop: Header=BB8_374 Depth=1
	s_wait_xcnt 0x0
	s_cbranch_execz .LBB8_422
	s_branch .LBB8_423
.LBB8_421:                              ;   in Loop: Header=BB8_374 Depth=1
	s_wait_xcnt 0x0
.LBB8_422:                              ;   in Loop: Header=BB8_374 Depth=1
	global_load_b64 v[22:23], v9, s[0:1]
.LBB8_423:                              ;   in Loop: Header=BB8_374 Depth=1
	s_wait_xcnt 0x0
	v_readfirstlane_b32 s0, v29
	v_mov_b64_e32 v[30:31], 0
	s_delay_alu instid0(VALU_DEP_2)
	v_cmp_eq_u32_e64 s0, s0, v29
	s_and_saveexec_b32 s1, s0
	s_cbranch_execz .LBB8_429
; %bb.424:                              ;   in Loop: Header=BB8_374 Depth=1
	global_load_b64 v[26:27], v9, s[2:3] offset:24 scope:SCOPE_SYS
	s_wait_loadcnt 0x0
	global_inv scope:SCOPE_SYS
	s_clause 0x1
	global_load_b64 v[24:25], v9, s[2:3] offset:40
	global_load_b64 v[30:31], v9, s[2:3]
	s_mov_b32 s14, exec_lo
	s_wait_loadcnt 0x1
	v_and_b32_e32 v24, v24, v26
	v_and_b32_e32 v25, v25, v27
	s_delay_alu instid0(VALU_DEP_1) | instskip(SKIP_1) | instid1(VALU_DEP_1)
	v_mul_u64_e32 v[24:25], 24, v[24:25]
	s_wait_loadcnt 0x0
	v_add_nc_u64_e32 v[24:25], v[30:31], v[24:25]
	global_load_b64 v[24:25], v[24:25], off scope:SCOPE_SYS
	s_wait_xcnt 0x0
	s_wait_loadcnt 0x0
	global_atomic_cmpswap_b64 v[30:31], v9, v[24:27], s[2:3] offset:24 th:TH_ATOMIC_RETURN scope:SCOPE_SYS
	s_wait_loadcnt 0x0
	global_inv scope:SCOPE_SYS
	s_wait_xcnt 0x0
	v_cmpx_ne_u64_e64 v[30:31], v[26:27]
	s_cbranch_execz .LBB8_428
; %bb.425:                              ;   in Loop: Header=BB8_374 Depth=1
	s_mov_b32 s15, 0
.LBB8_426:                              ;   Parent Loop BB8_374 Depth=1
                                        ; =>  This Inner Loop Header: Depth=2
	s_sleep 1
	s_clause 0x1
	global_load_b64 v[24:25], v9, s[2:3] offset:40
	global_load_b64 v[32:33], v9, s[2:3]
	v_mov_b64_e32 v[26:27], v[30:31]
	s_wait_loadcnt 0x1
	s_delay_alu instid0(VALU_DEP_1) | instskip(SKIP_1) | instid1(VALU_DEP_1)
	v_and_b32_e32 v1, v24, v26
	s_wait_loadcnt 0x0
	v_mad_nc_u64_u32 v[30:31], v1, 24, v[32:33]
	s_delay_alu instid0(VALU_DEP_3) | instskip(NEXT) | instid1(VALU_DEP_1)
	v_and_b32_e32 v1, v25, v27
	v_mad_u32 v31, v1, 24, v31
	global_load_b64 v[24:25], v[30:31], off scope:SCOPE_SYS
	s_wait_xcnt 0x0
	s_wait_loadcnt 0x0
	global_atomic_cmpswap_b64 v[30:31], v9, v[24:27], s[2:3] offset:24 th:TH_ATOMIC_RETURN scope:SCOPE_SYS
	s_wait_loadcnt 0x0
	global_inv scope:SCOPE_SYS
	v_cmp_eq_u64_e32 vcc_lo, v[30:31], v[26:27]
	s_or_b32 s15, vcc_lo, s15
	s_wait_xcnt 0x0
	s_and_not1_b32 exec_lo, exec_lo, s15
	s_cbranch_execnz .LBB8_426
; %bb.427:                              ;   in Loop: Header=BB8_374 Depth=1
	s_or_b32 exec_lo, exec_lo, s15
.LBB8_428:                              ;   in Loop: Header=BB8_374 Depth=1
	s_delay_alu instid0(SALU_CYCLE_1)
	s_or_b32 exec_lo, exec_lo, s14
.LBB8_429:                              ;   in Loop: Header=BB8_374 Depth=1
	s_delay_alu instid0(SALU_CYCLE_1)
	s_or_b32 exec_lo, exec_lo, s1
	s_clause 0x1
	global_load_b64 v[32:33], v9, s[2:3] offset:40
	global_load_b128 v[24:27], v9, s[2:3]
	v_readfirstlane_b32 s14, v30
	v_readfirstlane_b32 s15, v31
	s_mov_b32 s1, exec_lo
	s_wait_loadcnt 0x1
	v_and_b32_e32 v32, s14, v32
	v_and_b32_e32 v33, s15, v33
	s_delay_alu instid0(VALU_DEP_1) | instskip(SKIP_1) | instid1(VALU_DEP_1)
	v_mul_u64_e32 v[30:31], 24, v[32:33]
	s_wait_loadcnt 0x0
	v_add_nc_u64_e32 v[30:31], v[24:25], v[30:31]
	s_wait_xcnt 0x0
	s_and_saveexec_b32 s16, s0
	s_cbranch_execz .LBB8_431
; %bb.430:                              ;   in Loop: Header=BB8_374 Depth=1
	v_mov_b32_e32 v8, s1
	global_store_b128 v[30:31], v[8:11], off offset:8
.LBB8_431:                              ;   in Loop: Header=BB8_374 Depth=1
	s_wait_xcnt 0x0
	s_or_b32 exec_lo, exec_lo, s16
	v_cmp_lt_u64_e64 vcc_lo, s[10:11], 57
	v_lshlrev_b64_e32 v[32:33], 12, v[32:33]
	v_and_b32_e32 v4, 0xffffff1f, v4
	s_lshl_b32 s1, s12, 2
	s_delay_alu instid0(SALU_CYCLE_1) | instskip(SKIP_1) | instid1(VALU_DEP_3)
	s_add_co_i32 s1, s1, 28
	v_cndmask_b32_e32 v1, 0, v28, vcc_lo
	v_add_nc_u64_e32 v[26:27], v[26:27], v[32:33]
	s_delay_alu instid0(VALU_DEP_2) | instskip(NEXT) | instid1(VALU_DEP_2)
	v_or_b32_e32 v1, v4, v1
	v_readfirstlane_b32 s16, v26
	s_delay_alu instid0(VALU_DEP_3) | instskip(NEXT) | instid1(VALU_DEP_3)
	v_readfirstlane_b32 s17, v27
	v_and_or_b32 v4, 0x1e0, s1, v1
	s_clause 0x3
	global_store_b128 v0, v[4:7], s[16:17]
	global_store_b128 v0, v[12:15], s[16:17] offset:16
	global_store_b128 v0, v[16:19], s[16:17] offset:32
	;; [unrolled: 1-line block ×3, first 2 shown]
	s_wait_xcnt 0x0
	s_and_saveexec_b32 s1, s0
	s_cbranch_execz .LBB8_439
; %bb.432:                              ;   in Loop: Header=BB8_374 Depth=1
	s_clause 0x1
	global_load_b64 v[16:17], v9, s[2:3] offset:32 scope:SCOPE_SYS
	global_load_b64 v[4:5], v9, s[2:3] offset:40
	s_mov_b32 s16, exec_lo
	v_dual_mov_b32 v14, s14 :: v_dual_mov_b32 v15, s15
	s_wait_loadcnt 0x0
	v_and_b32_e32 v5, s15, v5
	v_and_b32_e32 v4, s14, v4
	s_delay_alu instid0(VALU_DEP_1) | instskip(NEXT) | instid1(VALU_DEP_1)
	v_mul_u64_e32 v[4:5], 24, v[4:5]
	v_add_nc_u64_e32 v[12:13], v[24:25], v[4:5]
	global_store_b64 v[12:13], v[16:17], off
	global_wb scope:SCOPE_SYS
	s_wait_storecnt 0x0
	s_wait_xcnt 0x0
	global_atomic_cmpswap_b64 v[6:7], v9, v[14:17], s[2:3] offset:32 th:TH_ATOMIC_RETURN scope:SCOPE_SYS
	s_wait_loadcnt 0x0
	v_cmpx_ne_u64_e64 v[6:7], v[16:17]
	s_cbranch_execz .LBB8_435
; %bb.433:                              ;   in Loop: Header=BB8_374 Depth=1
	s_mov_b32 s17, 0
.LBB8_434:                              ;   Parent Loop BB8_374 Depth=1
                                        ; =>  This Inner Loop Header: Depth=2
	v_dual_mov_b32 v4, s14 :: v_dual_mov_b32 v5, s15
	s_sleep 1
	global_store_b64 v[12:13], v[6:7], off
	global_wb scope:SCOPE_SYS
	s_wait_storecnt 0x0
	s_wait_xcnt 0x0
	global_atomic_cmpswap_b64 v[4:5], v9, v[4:7], s[2:3] offset:32 th:TH_ATOMIC_RETURN scope:SCOPE_SYS
	s_wait_loadcnt 0x0
	v_cmp_eq_u64_e32 vcc_lo, v[4:5], v[6:7]
	v_mov_b64_e32 v[6:7], v[4:5]
	s_or_b32 s17, vcc_lo, s17
	s_delay_alu instid0(SALU_CYCLE_1)
	s_and_not1_b32 exec_lo, exec_lo, s17
	s_cbranch_execnz .LBB8_434
.LBB8_435:                              ;   in Loop: Header=BB8_374 Depth=1
	s_or_b32 exec_lo, exec_lo, s16
	global_load_b64 v[4:5], v9, s[2:3] offset:16
	s_mov_b32 s17, exec_lo
	s_mov_b32 s16, exec_lo
	v_mbcnt_lo_u32_b32 v1, s17, 0
	s_wait_xcnt 0x0
	s_delay_alu instid0(VALU_DEP_1)
	v_cmpx_eq_u32_e32 0, v1
	s_cbranch_execz .LBB8_437
; %bb.436:                              ;   in Loop: Header=BB8_374 Depth=1
	s_bcnt1_i32_b32 s17, s17
	s_delay_alu instid0(SALU_CYCLE_1)
	v_mov_b32_e32 v8, s17
	global_wb scope:SCOPE_SYS
	s_wait_loadcnt 0x0
	s_wait_storecnt 0x0
	global_atomic_add_u64 v[4:5], v[8:9], off offset:8 scope:SCOPE_SYS
.LBB8_437:                              ;   in Loop: Header=BB8_374 Depth=1
	s_wait_xcnt 0x0
	s_or_b32 exec_lo, exec_lo, s16
	s_wait_loadcnt 0x0
	global_load_b64 v[6:7], v[4:5], off offset:16
	s_wait_loadcnt 0x0
	v_cmp_eq_u64_e32 vcc_lo, 0, v[6:7]
	s_cbranch_vccnz .LBB8_439
; %bb.438:                              ;   in Loop: Header=BB8_374 Depth=1
	global_load_b32 v8, v[4:5], off offset:24
	s_wait_loadcnt 0x0
	v_readfirstlane_b32 s16, v8
	global_wb scope:SCOPE_SYS
	s_wait_storecnt 0x0
	s_wait_xcnt 0x0
	global_store_b64 v[6:7], v[8:9], off scope:SCOPE_SYS
	s_and_b32 m0, s16, 0xffffff
	s_sendmsg sendmsg(MSG_INTERRUPT)
.LBB8_439:                              ;   in Loop: Header=BB8_374 Depth=1
	s_wait_xcnt 0x0
	s_or_b32 exec_lo, exec_lo, s1
	v_mov_b32_e32 v1, v9
	s_delay_alu instid0(VALU_DEP_1)
	v_add_nc_u64_e32 v[4:5], v[26:27], v[0:1]
	s_branch .LBB8_443
.LBB8_440:                              ;   in Loop: Header=BB8_443 Depth=2
	s_wait_xcnt 0x0
	s_or_b32 exec_lo, exec_lo, s1
	s_delay_alu instid0(VALU_DEP_1)
	v_readfirstlane_b32 s1, v1
	s_cmp_eq_u32 s1, 0
	s_cbranch_scc1 .LBB8_442
; %bb.441:                              ;   in Loop: Header=BB8_443 Depth=2
	s_sleep 1
	s_cbranch_execnz .LBB8_443
	s_branch .LBB8_445
.LBB8_442:                              ;   in Loop: Header=BB8_374 Depth=1
	s_branch .LBB8_445
.LBB8_443:                              ;   Parent Loop BB8_374 Depth=1
                                        ; =>  This Inner Loop Header: Depth=2
	v_mov_b32_e32 v1, 1
	s_and_saveexec_b32 s1, s0
	s_cbranch_execz .LBB8_440
; %bb.444:                              ;   in Loop: Header=BB8_443 Depth=2
	global_load_b32 v1, v[30:31], off offset:20 scope:SCOPE_SYS
	s_wait_loadcnt 0x0
	global_inv scope:SCOPE_SYS
	v_and_b32_e32 v1, 1, v1
	s_branch .LBB8_440
.LBB8_445:                              ;   in Loop: Header=BB8_374 Depth=1
	global_load_b64 v[4:5], v[4:5], off
	s_wait_xcnt 0x0
	s_and_saveexec_b32 s16, s0
	s_cbranch_execz .LBB8_373
; %bb.446:                              ;   in Loop: Header=BB8_374 Depth=1
	s_clause 0x2
	global_load_b64 v[6:7], v9, s[2:3] offset:40
	global_load_b64 v[16:17], v9, s[2:3] offset:24 scope:SCOPE_SYS
	global_load_b64 v[12:13], v9, s[2:3]
	s_wait_loadcnt 0x2
	v_readfirstlane_b32 s20, v6
	v_readfirstlane_b32 s21, v7
	s_add_nc_u64 s[0:1], s[20:21], 1
	s_delay_alu instid0(SALU_CYCLE_1) | instskip(NEXT) | instid1(SALU_CYCLE_1)
	s_add_nc_u64 s[14:15], s[0:1], s[14:15]
	s_cmp_eq_u64 s[14:15], 0
	s_cselect_b32 s1, s1, s15
	s_cselect_b32 s0, s0, s14
	s_delay_alu instid0(SALU_CYCLE_1) | instskip(SKIP_1) | instid1(SALU_CYCLE_1)
	v_dual_mov_b32 v15, s1 :: v_dual_mov_b32 v14, s0
	s_and_b64 s[14:15], s[0:1], s[20:21]
	s_mul_u64 s[14:15], s[14:15], 24
	s_wait_loadcnt 0x0
	v_add_nc_u64_e32 v[6:7], s[14:15], v[12:13]
	global_store_b64 v[6:7], v[16:17], off
	global_wb scope:SCOPE_SYS
	s_wait_storecnt 0x0
	s_wait_xcnt 0x0
	global_atomic_cmpswap_b64 v[14:15], v9, v[14:17], s[2:3] offset:24 th:TH_ATOMIC_RETURN scope:SCOPE_SYS
	s_wait_loadcnt 0x0
	v_cmp_ne_u64_e32 vcc_lo, v[14:15], v[16:17]
	s_and_b32 exec_lo, exec_lo, vcc_lo
	s_cbranch_execz .LBB8_373
; %bb.447:                              ;   in Loop: Header=BB8_374 Depth=1
	s_mov_b32 s14, 0
.LBB8_448:                              ;   Parent Loop BB8_374 Depth=1
                                        ; =>  This Inner Loop Header: Depth=2
	v_dual_mov_b32 v12, s0 :: v_dual_mov_b32 v13, s1
	s_sleep 1
	global_store_b64 v[6:7], v[14:15], off
	global_wb scope:SCOPE_SYS
	s_wait_storecnt 0x0
	s_wait_xcnt 0x0
	global_atomic_cmpswap_b64 v[12:13], v9, v[12:15], s[2:3] offset:24 th:TH_ATOMIC_RETURN scope:SCOPE_SYS
	s_wait_loadcnt 0x0
	v_cmp_eq_u64_e32 vcc_lo, v[12:13], v[14:15]
	v_mov_b64_e32 v[14:15], v[12:13]
	s_or_b32 s14, vcc_lo, s14
	s_delay_alu instid0(SALU_CYCLE_1)
	s_and_not1_b32 exec_lo, exec_lo, s14
	s_cbranch_execnz .LBB8_448
	s_branch .LBB8_373
.LBB8_449:
	s_branch .LBB8_506
.LBB8_450:
                                        ; implicit-def: $vgpr2_vgpr3
	s_cbranch_execz .LBB8_371
; %bb.451:
	v_readfirstlane_b32 s0, v29
	v_mov_b64_e32 v[8:9], 0
	s_delay_alu instid0(VALU_DEP_2)
	v_cmp_eq_u32_e64 s0, s0, v29
	s_and_saveexec_b32 s1, s0
	s_cbranch_execz .LBB8_457
; %bb.452:
	v_mov_b32_e32 v1, 0
	s_mov_b32 s8, exec_lo
	global_load_b64 v[4:5], v1, s[2:3] offset:24 scope:SCOPE_SYS
	s_wait_loadcnt 0x0
	global_inv scope:SCOPE_SYS
	s_clause 0x1
	global_load_b64 v[2:3], v1, s[2:3] offset:40
	global_load_b64 v[8:9], v1, s[2:3]
	s_wait_loadcnt 0x1
	v_and_b32_e32 v2, v2, v4
	v_and_b32_e32 v3, v3, v5
	s_delay_alu instid0(VALU_DEP_1) | instskip(SKIP_1) | instid1(VALU_DEP_1)
	v_mul_u64_e32 v[2:3], 24, v[2:3]
	s_wait_loadcnt 0x0
	v_add_nc_u64_e32 v[2:3], v[8:9], v[2:3]
	global_load_b64 v[2:3], v[2:3], off scope:SCOPE_SYS
	s_wait_xcnt 0x0
	s_wait_loadcnt 0x0
	global_atomic_cmpswap_b64 v[8:9], v1, v[2:5], s[2:3] offset:24 th:TH_ATOMIC_RETURN scope:SCOPE_SYS
	s_wait_loadcnt 0x0
	global_inv scope:SCOPE_SYS
	s_wait_xcnt 0x0
	v_cmpx_ne_u64_e64 v[8:9], v[4:5]
	s_cbranch_execz .LBB8_456
; %bb.453:
	s_mov_b32 s9, 0
.LBB8_454:                              ; =>This Inner Loop Header: Depth=1
	s_sleep 1
	s_clause 0x1
	global_load_b64 v[2:3], v1, s[2:3] offset:40
	global_load_b64 v[10:11], v1, s[2:3]
	v_mov_b64_e32 v[4:5], v[8:9]
	s_wait_loadcnt 0x1
	s_delay_alu instid0(VALU_DEP_1) | instskip(SKIP_1) | instid1(VALU_DEP_1)
	v_and_b32_e32 v2, v2, v4
	s_wait_loadcnt 0x0
	v_mad_nc_u64_u32 v[8:9], v2, 24, v[10:11]
	s_delay_alu instid0(VALU_DEP_3) | instskip(NEXT) | instid1(VALU_DEP_1)
	v_and_b32_e32 v2, v3, v5
	v_mad_u32 v9, v2, 24, v9
	global_load_b64 v[2:3], v[8:9], off scope:SCOPE_SYS
	s_wait_xcnt 0x0
	s_wait_loadcnt 0x0
	global_atomic_cmpswap_b64 v[8:9], v1, v[2:5], s[2:3] offset:24 th:TH_ATOMIC_RETURN scope:SCOPE_SYS
	s_wait_loadcnt 0x0
	global_inv scope:SCOPE_SYS
	v_cmp_eq_u64_e32 vcc_lo, v[8:9], v[4:5]
	s_or_b32 s9, vcc_lo, s9
	s_wait_xcnt 0x0
	s_and_not1_b32 exec_lo, exec_lo, s9
	s_cbranch_execnz .LBB8_454
; %bb.455:
	s_or_b32 exec_lo, exec_lo, s9
.LBB8_456:
	s_delay_alu instid0(SALU_CYCLE_1)
	s_or_b32 exec_lo, exec_lo, s8
.LBB8_457:
	s_delay_alu instid0(SALU_CYCLE_1)
	s_or_b32 exec_lo, exec_lo, s1
	v_readfirstlane_b32 s8, v8
	v_mov_b32_e32 v1, 0
	v_readfirstlane_b32 s9, v9
	s_mov_b32 s1, exec_lo
	global_load_b64 v[10:11], v1, s[2:3] offset:40
	s_wait_loadcnt 0x1
	global_load_b128 v[2:5], v1, s[2:3]
	s_wait_loadcnt 0x1
	v_and_b32_e32 v8, s8, v10
	v_and_b32_e32 v9, s9, v11
	s_delay_alu instid0(VALU_DEP_1) | instskip(SKIP_1) | instid1(VALU_DEP_1)
	v_mul_u64_e32 v[10:11], 24, v[8:9]
	s_wait_loadcnt 0x0
	v_add_nc_u64_e32 v[10:11], v[2:3], v[10:11]
	s_wait_xcnt 0x0
	s_and_saveexec_b32 s10, s0
	s_cbranch_execz .LBB8_459
; %bb.458:
	v_mov_b64_e32 v[14:15], 0x100000002
	v_dual_mov_b32 v12, s1 :: v_dual_mov_b32 v13, v1
	global_store_b128 v[10:11], v[12:15], off offset:8
.LBB8_459:
	s_wait_xcnt 0x0
	s_or_b32 exec_lo, exec_lo, s10
	v_lshlrev_b64_e32 v[8:9], 12, v[8:9]
	s_mov_b32 s12, 0
	v_and_or_b32 v6, 0xffffff1f, v6, 32
	s_mov_b32 s14, s12
	s_mov_b32 s15, s12
	;; [unrolled: 1-line block ×3, first 2 shown]
	v_mov_b64_e32 v[16:17], s[14:15]
	v_add_nc_u64_e32 v[12:13], v[4:5], v[8:9]
	v_mov_b64_e32 v[14:15], s[12:13]
	v_dual_mov_b32 v8, v1 :: v_dual_mov_b32 v9, v1
	s_delay_alu instid0(VALU_DEP_3) | instskip(NEXT) | instid1(VALU_DEP_4)
	v_readfirstlane_b32 s10, v12
	v_readfirstlane_b32 s11, v13
	s_clause 0x3
	global_store_b128 v0, v[6:9], s[10:11]
	global_store_b128 v0, v[14:17], s[10:11] offset:16
	global_store_b128 v0, v[14:17], s[10:11] offset:32
	;; [unrolled: 1-line block ×3, first 2 shown]
	s_wait_xcnt 0x0
	s_and_saveexec_b32 s1, s0
	s_cbranch_execz .LBB8_467
; %bb.460:
	v_dual_mov_b32 v8, 0 :: v_dual_mov_b32 v15, s9
	s_mov_b32 s10, exec_lo
	s_clause 0x1
	global_load_b64 v[16:17], v8, s[2:3] offset:32 scope:SCOPE_SYS
	global_load_b64 v[4:5], v8, s[2:3] offset:40
	s_wait_loadcnt 0x0
	v_dual_mov_b32 v14, s8 :: v_dual_bitop2_b32 v5, s9, v5 bitop3:0x40
	v_and_b32_e32 v4, s8, v4
	s_delay_alu instid0(VALU_DEP_1) | instskip(NEXT) | instid1(VALU_DEP_1)
	v_mul_u64_e32 v[4:5], 24, v[4:5]
	v_add_nc_u64_e32 v[6:7], v[2:3], v[4:5]
	global_store_b64 v[6:7], v[16:17], off
	global_wb scope:SCOPE_SYS
	s_wait_storecnt 0x0
	s_wait_xcnt 0x0
	global_atomic_cmpswap_b64 v[4:5], v8, v[14:17], s[2:3] offset:32 th:TH_ATOMIC_RETURN scope:SCOPE_SYS
	s_wait_loadcnt 0x0
	v_cmpx_ne_u64_e64 v[4:5], v[16:17]
	s_cbranch_execz .LBB8_463
; %bb.461:
	s_mov_b32 s11, 0
.LBB8_462:                              ; =>This Inner Loop Header: Depth=1
	v_dual_mov_b32 v2, s8 :: v_dual_mov_b32 v3, s9
	s_sleep 1
	global_store_b64 v[6:7], v[4:5], off
	global_wb scope:SCOPE_SYS
	s_wait_storecnt 0x0
	s_wait_xcnt 0x0
	global_atomic_cmpswap_b64 v[2:3], v8, v[2:5], s[2:3] offset:32 th:TH_ATOMIC_RETURN scope:SCOPE_SYS
	s_wait_loadcnt 0x0
	v_cmp_eq_u64_e32 vcc_lo, v[2:3], v[4:5]
	v_mov_b64_e32 v[4:5], v[2:3]
	s_or_b32 s11, vcc_lo, s11
	s_delay_alu instid0(SALU_CYCLE_1)
	s_and_not1_b32 exec_lo, exec_lo, s11
	s_cbranch_execnz .LBB8_462
.LBB8_463:
	s_or_b32 exec_lo, exec_lo, s10
	v_mov_b32_e32 v5, 0
	s_mov_b32 s11, exec_lo
	s_mov_b32 s10, exec_lo
	v_mbcnt_lo_u32_b32 v4, s11, 0
	global_load_b64 v[2:3], v5, s[2:3] offset:16
	s_wait_xcnt 0x0
	v_cmpx_eq_u32_e32 0, v4
	s_cbranch_execz .LBB8_465
; %bb.464:
	s_bcnt1_i32_b32 s11, s11
	s_delay_alu instid0(SALU_CYCLE_1)
	v_mov_b32_e32 v4, s11
	global_wb scope:SCOPE_SYS
	s_wait_loadcnt 0x0
	s_wait_storecnt 0x0
	global_atomic_add_u64 v[2:3], v[4:5], off offset:8 scope:SCOPE_SYS
.LBB8_465:
	s_wait_xcnt 0x0
	s_or_b32 exec_lo, exec_lo, s10
	s_wait_loadcnt 0x0
	global_load_b64 v[4:5], v[2:3], off offset:16
	s_wait_loadcnt 0x0
	v_cmp_eq_u64_e32 vcc_lo, 0, v[4:5]
	s_cbranch_vccnz .LBB8_467
; %bb.466:
	global_load_b32 v2, v[2:3], off offset:24
	s_wait_xcnt 0x0
	v_mov_b32_e32 v3, 0
	s_wait_loadcnt 0x0
	v_readfirstlane_b32 s10, v2
	global_wb scope:SCOPE_SYS
	s_wait_storecnt 0x0
	global_store_b64 v[4:5], v[2:3], off scope:SCOPE_SYS
	s_and_b32 m0, s10, 0xffffff
	s_sendmsg sendmsg(MSG_INTERRUPT)
.LBB8_467:
	s_wait_xcnt 0x0
	s_or_b32 exec_lo, exec_lo, s1
	v_add_nc_u64_e32 v[2:3], v[12:13], v[0:1]
	s_branch .LBB8_471
.LBB8_468:                              ;   in Loop: Header=BB8_471 Depth=1
	s_wait_xcnt 0x0
	s_or_b32 exec_lo, exec_lo, s1
	s_delay_alu instid0(VALU_DEP_1)
	v_readfirstlane_b32 s1, v1
	s_cmp_eq_u32 s1, 0
	s_cbranch_scc1 .LBB8_470
; %bb.469:                              ;   in Loop: Header=BB8_471 Depth=1
	s_sleep 1
	s_cbranch_execnz .LBB8_471
	s_branch .LBB8_473
.LBB8_470:
	s_branch .LBB8_473
.LBB8_471:                              ; =>This Inner Loop Header: Depth=1
	v_mov_b32_e32 v1, 1
	s_and_saveexec_b32 s1, s0
	s_cbranch_execz .LBB8_468
; %bb.472:                              ;   in Loop: Header=BB8_471 Depth=1
	global_load_b32 v1, v[10:11], off offset:20 scope:SCOPE_SYS
	s_wait_loadcnt 0x0
	global_inv scope:SCOPE_SYS
	v_and_b32_e32 v1, 1, v1
	s_branch .LBB8_468
.LBB8_473:
	global_load_b64 v[2:3], v[2:3], off
	s_wait_xcnt 0x0
	s_and_saveexec_b32 s10, s0
	s_cbranch_execz .LBB8_477
; %bb.474:
	v_mov_b32_e32 v1, 0
	s_clause 0x2
	global_load_b64 v[4:5], v1, s[2:3] offset:40
	global_load_b64 v[12:13], v1, s[2:3] offset:24 scope:SCOPE_SYS
	global_load_b64 v[6:7], v1, s[2:3]
	s_wait_loadcnt 0x2
	v_readfirstlane_b32 s12, v4
	v_readfirstlane_b32 s13, v5
	s_add_nc_u64 s[0:1], s[12:13], 1
	s_delay_alu instid0(SALU_CYCLE_1) | instskip(NEXT) | instid1(SALU_CYCLE_1)
	s_add_nc_u64 s[8:9], s[0:1], s[8:9]
	s_cmp_eq_u64 s[8:9], 0
	s_cselect_b32 s1, s1, s9
	s_cselect_b32 s0, s0, s8
	v_mov_b32_e32 v11, s1
	s_and_b64 s[8:9], s[0:1], s[12:13]
	v_mov_b32_e32 v10, s0
	s_mul_u64 s[8:9], s[8:9], 24
	s_wait_loadcnt 0x0
	v_add_nc_u64_e32 v[8:9], s[8:9], v[6:7]
	global_store_b64 v[8:9], v[12:13], off
	global_wb scope:SCOPE_SYS
	s_wait_storecnt 0x0
	s_wait_xcnt 0x0
	global_atomic_cmpswap_b64 v[6:7], v1, v[10:13], s[2:3] offset:24 th:TH_ATOMIC_RETURN scope:SCOPE_SYS
	s_wait_loadcnt 0x0
	v_cmp_ne_u64_e32 vcc_lo, v[6:7], v[12:13]
	s_and_b32 exec_lo, exec_lo, vcc_lo
	s_cbranch_execz .LBB8_477
; %bb.475:
	s_mov_b32 s8, 0
.LBB8_476:                              ; =>This Inner Loop Header: Depth=1
	v_dual_mov_b32 v4, s0 :: v_dual_mov_b32 v5, s1
	s_sleep 1
	global_store_b64 v[8:9], v[6:7], off
	global_wb scope:SCOPE_SYS
	s_wait_storecnt 0x0
	s_wait_xcnt 0x0
	global_atomic_cmpswap_b64 v[4:5], v1, v[4:7], s[2:3] offset:24 th:TH_ATOMIC_RETURN scope:SCOPE_SYS
	s_wait_loadcnt 0x0
	v_cmp_eq_u64_e32 vcc_lo, v[4:5], v[6:7]
	v_mov_b64_e32 v[6:7], v[4:5]
	s_or_b32 s8, vcc_lo, s8
	s_delay_alu instid0(SALU_CYCLE_1)
	s_and_not1_b32 exec_lo, exec_lo, s8
	s_cbranch_execnz .LBB8_476
.LBB8_477:
	s_or_b32 exec_lo, exec_lo, s10
	s_delay_alu instid0(SALU_CYCLE_1)
	s_and_b32 vcc_lo, exec_lo, s19
	s_cbranch_vccnz .LBB8_372
.LBB8_478:
                                        ; implicit-def: $vgpr4_vgpr5
	s_cbranch_execz .LBB8_506
; %bb.479:
	v_readfirstlane_b32 s0, v29
	s_wait_loadcnt 0x0
	v_mov_b64_e32 v[4:5], 0
	s_delay_alu instid0(VALU_DEP_2)
	v_cmp_eq_u32_e64 s0, s0, v29
	s_and_saveexec_b32 s1, s0
	s_cbranch_execz .LBB8_485
; %bb.480:
	v_mov_b32_e32 v1, 0
	s_mov_b32 s8, exec_lo
	global_load_b64 v[6:7], v1, s[2:3] offset:24 scope:SCOPE_SYS
	s_wait_loadcnt 0x0
	global_inv scope:SCOPE_SYS
	s_clause 0x1
	global_load_b64 v[4:5], v1, s[2:3] offset:40
	global_load_b64 v[8:9], v1, s[2:3]
	s_wait_loadcnt 0x1
	v_and_b32_e32 v4, v4, v6
	v_and_b32_e32 v5, v5, v7
	s_delay_alu instid0(VALU_DEP_1) | instskip(SKIP_1) | instid1(VALU_DEP_1)
	v_mul_u64_e32 v[4:5], 24, v[4:5]
	s_wait_loadcnt 0x0
	v_add_nc_u64_e32 v[4:5], v[8:9], v[4:5]
	global_load_b64 v[4:5], v[4:5], off scope:SCOPE_SYS
	s_wait_xcnt 0x0
	s_wait_loadcnt 0x0
	global_atomic_cmpswap_b64 v[4:5], v1, v[4:7], s[2:3] offset:24 th:TH_ATOMIC_RETURN scope:SCOPE_SYS
	s_wait_loadcnt 0x0
	global_inv scope:SCOPE_SYS
	s_wait_xcnt 0x0
	v_cmpx_ne_u64_e64 v[4:5], v[6:7]
	s_cbranch_execz .LBB8_484
; %bb.481:
	s_mov_b32 s9, 0
.LBB8_482:                              ; =>This Inner Loop Header: Depth=1
	s_sleep 1
	s_clause 0x1
	global_load_b64 v[8:9], v1, s[2:3] offset:40
	global_load_b64 v[10:11], v1, s[2:3]
	v_mov_b64_e32 v[6:7], v[4:5]
	s_wait_loadcnt 0x1
	s_delay_alu instid0(VALU_DEP_1) | instskip(NEXT) | instid1(VALU_DEP_2)
	v_and_b32_e32 v4, v8, v6
	v_and_b32_e32 v8, v9, v7
	s_wait_loadcnt 0x0
	s_delay_alu instid0(VALU_DEP_2) | instskip(NEXT) | instid1(VALU_DEP_1)
	v_mad_nc_u64_u32 v[4:5], v4, 24, v[10:11]
	v_mad_u32 v5, v8, 24, v5
	global_load_b64 v[4:5], v[4:5], off scope:SCOPE_SYS
	s_wait_xcnt 0x0
	s_wait_loadcnt 0x0
	global_atomic_cmpswap_b64 v[4:5], v1, v[4:7], s[2:3] offset:24 th:TH_ATOMIC_RETURN scope:SCOPE_SYS
	s_wait_loadcnt 0x0
	global_inv scope:SCOPE_SYS
	v_cmp_eq_u64_e32 vcc_lo, v[4:5], v[6:7]
	s_or_b32 s9, vcc_lo, s9
	s_wait_xcnt 0x0
	s_and_not1_b32 exec_lo, exec_lo, s9
	s_cbranch_execnz .LBB8_482
; %bb.483:
	s_or_b32 exec_lo, exec_lo, s9
.LBB8_484:
	s_delay_alu instid0(SALU_CYCLE_1)
	s_or_b32 exec_lo, exec_lo, s8
.LBB8_485:
	s_delay_alu instid0(SALU_CYCLE_1)
	s_or_b32 exec_lo, exec_lo, s1
	v_readfirstlane_b32 s8, v4
	v_mov_b32_e32 v1, 0
	v_readfirstlane_b32 s9, v5
	s_mov_b32 s1, exec_lo
	s_clause 0x1
	global_load_b64 v[10:11], v1, s[2:3] offset:40
	global_load_b128 v[6:9], v1, s[2:3]
	s_wait_loadcnt 0x1
	v_and_b32_e32 v4, s8, v10
	v_and_b32_e32 v5, s9, v11
	s_delay_alu instid0(VALU_DEP_1) | instskip(SKIP_1) | instid1(VALU_DEP_1)
	v_mul_u64_e32 v[10:11], 24, v[4:5]
	s_wait_loadcnt 0x0
	v_add_nc_u64_e32 v[10:11], v[6:7], v[10:11]
	s_wait_xcnt 0x0
	s_and_saveexec_b32 s10, s0
	s_cbranch_execz .LBB8_487
; %bb.486:
	v_mov_b64_e32 v[14:15], 0x100000002
	v_dual_mov_b32 v12, s1 :: v_dual_mov_b32 v13, v1
	global_store_b128 v[10:11], v[12:15], off offset:8
.LBB8_487:
	s_wait_xcnt 0x0
	s_or_b32 exec_lo, exec_lo, s10
	v_lshlrev_b64_e32 v[4:5], 12, v[4:5]
	s_mov_b32 s12, 0
	v_and_or_b32 v2, 0xffffff1f, v2, 32
	s_mov_b32 s13, s12
	s_mov_b32 s14, s12
	;; [unrolled: 1-line block ×3, first 2 shown]
	v_mov_b64_e32 v[12:13], s[12:13]
	v_add_nc_u64_e32 v[8:9], v[8:9], v[4:5]
	v_mov_b64_e32 v[14:15], s[14:15]
	v_dual_mov_b32 v4, v1 :: v_dual_mov_b32 v5, v1
	s_delay_alu instid0(VALU_DEP_3) | instskip(NEXT) | instid1(VALU_DEP_4)
	v_readfirstlane_b32 s10, v8
	v_readfirstlane_b32 s11, v9
	s_clause 0x3
	global_store_b128 v0, v[2:5], s[10:11]
	global_store_b128 v0, v[12:15], s[10:11] offset:16
	global_store_b128 v0, v[12:15], s[10:11] offset:32
	;; [unrolled: 1-line block ×3, first 2 shown]
	s_wait_xcnt 0x0
	s_and_saveexec_b32 s1, s0
	s_cbranch_execz .LBB8_495
; %bb.488:
	v_dual_mov_b32 v12, 0 :: v_dual_mov_b32 v15, s9
	s_mov_b32 s10, exec_lo
	s_clause 0x1
	global_load_b64 v[16:17], v12, s[2:3] offset:32 scope:SCOPE_SYS
	global_load_b64 v[2:3], v12, s[2:3] offset:40
	s_wait_loadcnt 0x0
	v_dual_mov_b32 v14, s8 :: v_dual_bitop2_b32 v3, s9, v3 bitop3:0x40
	v_and_b32_e32 v2, s8, v2
	s_delay_alu instid0(VALU_DEP_1) | instskip(NEXT) | instid1(VALU_DEP_1)
	v_mul_u64_e32 v[2:3], 24, v[2:3]
	v_add_nc_u64_e32 v[6:7], v[6:7], v[2:3]
	global_store_b64 v[6:7], v[16:17], off
	global_wb scope:SCOPE_SYS
	s_wait_storecnt 0x0
	s_wait_xcnt 0x0
	global_atomic_cmpswap_b64 v[4:5], v12, v[14:17], s[2:3] offset:32 th:TH_ATOMIC_RETURN scope:SCOPE_SYS
	s_wait_loadcnt 0x0
	v_cmpx_ne_u64_e64 v[4:5], v[16:17]
	s_cbranch_execz .LBB8_491
; %bb.489:
	s_mov_b32 s11, 0
.LBB8_490:                              ; =>This Inner Loop Header: Depth=1
	v_dual_mov_b32 v2, s8 :: v_dual_mov_b32 v3, s9
	s_sleep 1
	global_store_b64 v[6:7], v[4:5], off
	global_wb scope:SCOPE_SYS
	s_wait_storecnt 0x0
	s_wait_xcnt 0x0
	global_atomic_cmpswap_b64 v[2:3], v12, v[2:5], s[2:3] offset:32 th:TH_ATOMIC_RETURN scope:SCOPE_SYS
	s_wait_loadcnt 0x0
	v_cmp_eq_u64_e32 vcc_lo, v[2:3], v[4:5]
	v_mov_b64_e32 v[4:5], v[2:3]
	s_or_b32 s11, vcc_lo, s11
	s_delay_alu instid0(SALU_CYCLE_1)
	s_and_not1_b32 exec_lo, exec_lo, s11
	s_cbranch_execnz .LBB8_490
.LBB8_491:
	s_or_b32 exec_lo, exec_lo, s10
	v_mov_b32_e32 v5, 0
	s_mov_b32 s11, exec_lo
	s_mov_b32 s10, exec_lo
	v_mbcnt_lo_u32_b32 v4, s11, 0
	global_load_b64 v[2:3], v5, s[2:3] offset:16
	s_wait_xcnt 0x0
	v_cmpx_eq_u32_e32 0, v4
	s_cbranch_execz .LBB8_493
; %bb.492:
	s_bcnt1_i32_b32 s11, s11
	s_delay_alu instid0(SALU_CYCLE_1)
	v_mov_b32_e32 v4, s11
	global_wb scope:SCOPE_SYS
	s_wait_loadcnt 0x0
	s_wait_storecnt 0x0
	global_atomic_add_u64 v[2:3], v[4:5], off offset:8 scope:SCOPE_SYS
.LBB8_493:
	s_wait_xcnt 0x0
	s_or_b32 exec_lo, exec_lo, s10
	s_wait_loadcnt 0x0
	global_load_b64 v[4:5], v[2:3], off offset:16
	s_wait_loadcnt 0x0
	v_cmp_eq_u64_e32 vcc_lo, 0, v[4:5]
	s_cbranch_vccnz .LBB8_495
; %bb.494:
	global_load_b32 v2, v[2:3], off offset:24
	s_wait_xcnt 0x0
	v_mov_b32_e32 v3, 0
	s_wait_loadcnt 0x0
	v_readfirstlane_b32 s10, v2
	global_wb scope:SCOPE_SYS
	s_wait_storecnt 0x0
	global_store_b64 v[4:5], v[2:3], off scope:SCOPE_SYS
	s_and_b32 m0, s10, 0xffffff
	s_sendmsg sendmsg(MSG_INTERRUPT)
.LBB8_495:
	s_wait_xcnt 0x0
	s_or_b32 exec_lo, exec_lo, s1
	v_add_nc_u64_e32 v[2:3], v[8:9], v[0:1]
	s_branch .LBB8_499
.LBB8_496:                              ;   in Loop: Header=BB8_499 Depth=1
	s_wait_xcnt 0x0
	s_or_b32 exec_lo, exec_lo, s1
	s_delay_alu instid0(VALU_DEP_1)
	v_readfirstlane_b32 s1, v1
	s_cmp_eq_u32 s1, 0
	s_cbranch_scc1 .LBB8_498
; %bb.497:                              ;   in Loop: Header=BB8_499 Depth=1
	s_sleep 1
	s_cbranch_execnz .LBB8_499
	s_branch .LBB8_501
.LBB8_498:
	s_branch .LBB8_501
.LBB8_499:                              ; =>This Inner Loop Header: Depth=1
	v_mov_b32_e32 v1, 1
	s_and_saveexec_b32 s1, s0
	s_cbranch_execz .LBB8_496
; %bb.500:                              ;   in Loop: Header=BB8_499 Depth=1
	global_load_b32 v1, v[10:11], off offset:20 scope:SCOPE_SYS
	s_wait_loadcnt 0x0
	global_inv scope:SCOPE_SYS
	v_and_b32_e32 v1, 1, v1
	s_branch .LBB8_496
.LBB8_501:
	global_load_b64 v[4:5], v[2:3], off
	s_wait_xcnt 0x0
	s_and_saveexec_b32 s10, s0
	s_cbranch_execz .LBB8_505
; %bb.502:
	v_mov_b32_e32 v1, 0
	s_clause 0x2
	global_load_b64 v[2:3], v1, s[2:3] offset:40
	global_load_b64 v[10:11], v1, s[2:3] offset:24 scope:SCOPE_SYS
	global_load_b64 v[6:7], v1, s[2:3]
	s_wait_loadcnt 0x2
	v_readfirstlane_b32 s12, v2
	v_readfirstlane_b32 s13, v3
	s_add_nc_u64 s[0:1], s[12:13], 1
	s_delay_alu instid0(SALU_CYCLE_1) | instskip(NEXT) | instid1(SALU_CYCLE_1)
	s_add_nc_u64 s[8:9], s[0:1], s[8:9]
	s_cmp_eq_u64 s[8:9], 0
	s_cselect_b32 s1, s1, s9
	s_cselect_b32 s0, s0, s8
	v_mov_b32_e32 v9, s1
	s_and_b64 s[8:9], s[0:1], s[12:13]
	v_mov_b32_e32 v8, s0
	s_mul_u64 s[8:9], s[8:9], 24
	s_wait_loadcnt 0x0
	v_add_nc_u64_e32 v[2:3], s[8:9], v[6:7]
	global_store_b64 v[2:3], v[10:11], off
	global_wb scope:SCOPE_SYS
	s_wait_storecnt 0x0
	s_wait_xcnt 0x0
	global_atomic_cmpswap_b64 v[8:9], v1, v[8:11], s[2:3] offset:24 th:TH_ATOMIC_RETURN scope:SCOPE_SYS
	s_wait_loadcnt 0x0
	v_cmp_ne_u64_e32 vcc_lo, v[8:9], v[10:11]
	s_and_b32 exec_lo, exec_lo, vcc_lo
	s_cbranch_execz .LBB8_505
; %bb.503:
	s_mov_b32 s8, 0
.LBB8_504:                              ; =>This Inner Loop Header: Depth=1
	v_dual_mov_b32 v6, s0 :: v_dual_mov_b32 v7, s1
	s_sleep 1
	global_store_b64 v[2:3], v[8:9], off
	global_wb scope:SCOPE_SYS
	s_wait_storecnt 0x0
	s_wait_xcnt 0x0
	global_atomic_cmpswap_b64 v[6:7], v1, v[6:9], s[2:3] offset:24 th:TH_ATOMIC_RETURN scope:SCOPE_SYS
	s_wait_loadcnt 0x0
	v_cmp_eq_u64_e32 vcc_lo, v[6:7], v[8:9]
	v_mov_b64_e32 v[8:9], v[6:7]
	s_or_b32 s8, vcc_lo, s8
	s_delay_alu instid0(SALU_CYCLE_1)
	s_and_not1_b32 exec_lo, exec_lo, s8
	s_cbranch_execnz .LBB8_504
.LBB8_505:
	s_or_b32 exec_lo, exec_lo, s10
.LBB8_506:
	v_readfirstlane_b32 s0, v29
	s_wait_loadcnt 0x0
	v_mov_b64_e32 v[2:3], 0
	s_delay_alu instid0(VALU_DEP_2)
	v_cmp_eq_u32_e64 s0, s0, v29
	s_and_saveexec_b32 s1, s0
	s_cbranch_execz .LBB8_512
; %bb.507:
	v_mov_b32_e32 v1, 0
	s_mov_b32 s8, exec_lo
	global_load_b64 v[8:9], v1, s[2:3] offset:24 scope:SCOPE_SYS
	s_wait_loadcnt 0x0
	global_inv scope:SCOPE_SYS
	s_clause 0x1
	global_load_b64 v[2:3], v1, s[2:3] offset:40
	global_load_b64 v[6:7], v1, s[2:3]
	s_wait_loadcnt 0x1
	v_and_b32_e32 v2, v2, v8
	v_and_b32_e32 v3, v3, v9
	s_delay_alu instid0(VALU_DEP_1) | instskip(SKIP_1) | instid1(VALU_DEP_1)
	v_mul_u64_e32 v[2:3], 24, v[2:3]
	s_wait_loadcnt 0x0
	v_add_nc_u64_e32 v[2:3], v[6:7], v[2:3]
	global_load_b64 v[6:7], v[2:3], off scope:SCOPE_SYS
	s_wait_xcnt 0x0
	s_wait_loadcnt 0x0
	global_atomic_cmpswap_b64 v[2:3], v1, v[6:9], s[2:3] offset:24 th:TH_ATOMIC_RETURN scope:SCOPE_SYS
	s_wait_loadcnt 0x0
	global_inv scope:SCOPE_SYS
	s_wait_xcnt 0x0
	v_cmpx_ne_u64_e64 v[2:3], v[8:9]
	s_cbranch_execz .LBB8_511
; %bb.508:
	s_mov_b32 s9, 0
.LBB8_509:                              ; =>This Inner Loop Header: Depth=1
	s_sleep 1
	s_clause 0x1
	global_load_b64 v[6:7], v1, s[2:3] offset:40
	global_load_b64 v[10:11], v1, s[2:3]
	v_mov_b64_e32 v[8:9], v[2:3]
	s_wait_loadcnt 0x1
	s_delay_alu instid0(VALU_DEP_1) | instskip(NEXT) | instid1(VALU_DEP_2)
	v_and_b32_e32 v2, v6, v8
	v_and_b32_e32 v6, v7, v9
	s_wait_loadcnt 0x0
	s_delay_alu instid0(VALU_DEP_2) | instskip(NEXT) | instid1(VALU_DEP_1)
	v_mad_nc_u64_u32 v[2:3], v2, 24, v[10:11]
	v_mad_u32 v3, v6, 24, v3
	global_load_b64 v[6:7], v[2:3], off scope:SCOPE_SYS
	s_wait_xcnt 0x0
	s_wait_loadcnt 0x0
	global_atomic_cmpswap_b64 v[2:3], v1, v[6:9], s[2:3] offset:24 th:TH_ATOMIC_RETURN scope:SCOPE_SYS
	s_wait_loadcnt 0x0
	global_inv scope:SCOPE_SYS
	v_cmp_eq_u64_e32 vcc_lo, v[2:3], v[8:9]
	s_or_b32 s9, vcc_lo, s9
	s_wait_xcnt 0x0
	s_and_not1_b32 exec_lo, exec_lo, s9
	s_cbranch_execnz .LBB8_509
; %bb.510:
	s_or_b32 exec_lo, exec_lo, s9
.LBB8_511:
	s_delay_alu instid0(SALU_CYCLE_1)
	s_or_b32 exec_lo, exec_lo, s8
.LBB8_512:
	s_delay_alu instid0(SALU_CYCLE_1)
	s_or_b32 exec_lo, exec_lo, s1
	v_readfirstlane_b32 s8, v2
	v_mov_b32_e32 v7, 0
	v_readfirstlane_b32 s9, v3
	s_mov_b32 s1, exec_lo
	s_clause 0x1
	global_load_b64 v[12:13], v7, s[2:3] offset:40
	global_load_b128 v[8:11], v7, s[2:3]
	s_wait_loadcnt 0x1
	v_and_b32_e32 v2, s8, v12
	v_and_b32_e32 v3, s9, v13
	s_delay_alu instid0(VALU_DEP_1) | instskip(SKIP_1) | instid1(VALU_DEP_1)
	v_mul_u64_e32 v[12:13], 24, v[2:3]
	s_wait_loadcnt 0x0
	v_add_nc_u64_e32 v[12:13], v[8:9], v[12:13]
	s_wait_xcnt 0x0
	s_and_saveexec_b32 s10, s0
	s_cbranch_execz .LBB8_514
; %bb.513:
	v_mov_b32_e32 v6, s1
	v_mov_b64_e32 v[16:17], 0x100000002
	s_delay_alu instid0(VALU_DEP_2)
	v_mov_b64_e32 v[14:15], v[6:7]
	global_store_b128 v[12:13], v[14:17], off offset:8
.LBB8_514:
	s_wait_xcnt 0x0
	s_or_b32 exec_lo, exec_lo, s10
	v_lshlrev_b64_e32 v[2:3], 12, v[2:3]
	s_mov_b32 s12, 0
	v_and_or_b32 v4, 0xffffff1d, v4, 34
	s_mov_b32 s14, s12
	s_mov_b32 s15, s12
	;; [unrolled: 1-line block ×3, first 2 shown]
	v_mov_b64_e32 v[16:17], s[14:15]
	v_add_nc_u64_e32 v[2:3], v[10:11], v[2:3]
	v_mov_b64_e32 v[14:15], s[12:13]
	v_mov_b32_e32 v6, 1
	s_delay_alu instid0(VALU_DEP_3) | instskip(NEXT) | instid1(VALU_DEP_4)
	v_readfirstlane_b32 s10, v2
	v_readfirstlane_b32 s11, v3
	s_clause 0x3
	global_store_b128 v0, v[4:7], s[10:11]
	global_store_b128 v0, v[14:17], s[10:11] offset:16
	global_store_b128 v0, v[14:17], s[10:11] offset:32
	;; [unrolled: 1-line block ×3, first 2 shown]
	s_wait_xcnt 0x0
	s_and_saveexec_b32 s1, s0
	s_cbranch_execz .LBB8_522
; %bb.515:
	v_mov_b32_e32 v1, 0
	s_mov_b32 s10, exec_lo
	s_clause 0x1
	global_load_b64 v[10:11], v1, s[2:3] offset:32 scope:SCOPE_SYS
	global_load_b64 v[2:3], v1, s[2:3] offset:40
	s_wait_loadcnt 0x0
	v_and_b32_e32 v2, s8, v2
	v_and_b32_e32 v3, s9, v3
	s_delay_alu instid0(VALU_DEP_1) | instskip(NEXT) | instid1(VALU_DEP_1)
	v_mul_u64_e32 v[2:3], 24, v[2:3]
	v_add_nc_u64_e32 v[6:7], v[8:9], v[2:3]
	v_dual_mov_b32 v8, s8 :: v_dual_mov_b32 v9, s9
	global_store_b64 v[6:7], v[10:11], off
	global_wb scope:SCOPE_SYS
	s_wait_storecnt 0x0
	s_wait_xcnt 0x0
	global_atomic_cmpswap_b64 v[4:5], v1, v[8:11], s[2:3] offset:32 th:TH_ATOMIC_RETURN scope:SCOPE_SYS
	s_wait_loadcnt 0x0
	v_cmpx_ne_u64_e64 v[4:5], v[10:11]
	s_cbranch_execz .LBB8_518
; %bb.516:
	s_mov_b32 s11, 0
.LBB8_517:                              ; =>This Inner Loop Header: Depth=1
	v_dual_mov_b32 v2, s8 :: v_dual_mov_b32 v3, s9
	s_sleep 1
	global_store_b64 v[6:7], v[4:5], off
	global_wb scope:SCOPE_SYS
	s_wait_storecnt 0x0
	s_wait_xcnt 0x0
	global_atomic_cmpswap_b64 v[2:3], v1, v[2:5], s[2:3] offset:32 th:TH_ATOMIC_RETURN scope:SCOPE_SYS
	s_wait_loadcnt 0x0
	v_cmp_eq_u64_e32 vcc_lo, v[2:3], v[4:5]
	v_mov_b64_e32 v[4:5], v[2:3]
	s_or_b32 s11, vcc_lo, s11
	s_delay_alu instid0(SALU_CYCLE_1)
	s_and_not1_b32 exec_lo, exec_lo, s11
	s_cbranch_execnz .LBB8_517
.LBB8_518:
	s_or_b32 exec_lo, exec_lo, s10
	v_mov_b32_e32 v5, 0
	s_mov_b32 s11, exec_lo
	s_mov_b32 s10, exec_lo
	v_mbcnt_lo_u32_b32 v1, s11, 0
	global_load_b64 v[2:3], v5, s[2:3] offset:16
	s_wait_xcnt 0x0
	v_cmpx_eq_u32_e32 0, v1
	s_cbranch_execz .LBB8_520
; %bb.519:
	s_bcnt1_i32_b32 s11, s11
	s_delay_alu instid0(SALU_CYCLE_1)
	v_mov_b32_e32 v4, s11
	global_wb scope:SCOPE_SYS
	s_wait_loadcnt 0x0
	s_wait_storecnt 0x0
	global_atomic_add_u64 v[2:3], v[4:5], off offset:8 scope:SCOPE_SYS
.LBB8_520:
	s_wait_xcnt 0x0
	s_or_b32 exec_lo, exec_lo, s10
	s_wait_loadcnt 0x0
	global_load_b64 v[4:5], v[2:3], off offset:16
	s_wait_loadcnt 0x0
	v_cmp_eq_u64_e32 vcc_lo, 0, v[4:5]
	s_cbranch_vccnz .LBB8_522
; %bb.521:
	global_load_b32 v2, v[2:3], off offset:24
	s_wait_xcnt 0x0
	v_mov_b32_e32 v3, 0
	s_wait_loadcnt 0x0
	v_readfirstlane_b32 s10, v2
	global_wb scope:SCOPE_SYS
	s_wait_storecnt 0x0
	global_store_b64 v[4:5], v[2:3], off scope:SCOPE_SYS
	s_and_b32 m0, s10, 0xffffff
	s_sendmsg sendmsg(MSG_INTERRUPT)
.LBB8_522:
	s_wait_xcnt 0x0
	s_or_b32 exec_lo, exec_lo, s1
	s_branch .LBB8_526
.LBB8_523:                              ;   in Loop: Header=BB8_526 Depth=1
	s_wait_xcnt 0x0
	s_or_b32 exec_lo, exec_lo, s1
	s_delay_alu instid0(VALU_DEP_1)
	v_readfirstlane_b32 s1, v1
	s_cmp_eq_u32 s1, 0
	s_cbranch_scc1 .LBB8_525
; %bb.524:                              ;   in Loop: Header=BB8_526 Depth=1
	s_sleep 1
	s_cbranch_execnz .LBB8_526
	s_branch .LBB8_528
.LBB8_525:
	s_branch .LBB8_528
.LBB8_526:                              ; =>This Inner Loop Header: Depth=1
	v_mov_b32_e32 v1, 1
	s_and_saveexec_b32 s1, s0
	s_cbranch_execz .LBB8_523
; %bb.527:                              ;   in Loop: Header=BB8_526 Depth=1
	global_load_b32 v1, v[12:13], off offset:20 scope:SCOPE_SYS
	s_wait_loadcnt 0x0
	global_inv scope:SCOPE_SYS
	v_and_b32_e32 v1, 1, v1
	s_branch .LBB8_523
.LBB8_528:
	s_and_saveexec_b32 s10, s0
	s_cbranch_execz .LBB8_532
; %bb.529:
	v_mov_b32_e32 v1, 0
	s_clause 0x2
	global_load_b64 v[2:3], v1, s[2:3] offset:40
	global_load_b64 v[10:11], v1, s[2:3] offset:24 scope:SCOPE_SYS
	global_load_b64 v[4:5], v1, s[2:3]
	s_wait_loadcnt 0x2
	v_readfirstlane_b32 s12, v2
	v_readfirstlane_b32 s13, v3
	s_add_nc_u64 s[0:1], s[12:13], 1
	s_delay_alu instid0(SALU_CYCLE_1) | instskip(NEXT) | instid1(SALU_CYCLE_1)
	s_add_nc_u64 s[8:9], s[0:1], s[8:9]
	s_cmp_eq_u64 s[8:9], 0
	s_cselect_b32 s1, s1, s9
	s_cselect_b32 s0, s0, s8
	v_mov_b32_e32 v9, s1
	s_and_b64 s[8:9], s[0:1], s[12:13]
	v_mov_b32_e32 v8, s0
	s_mul_u64 s[8:9], s[8:9], 24
	s_wait_loadcnt 0x0
	v_add_nc_u64_e32 v[6:7], s[8:9], v[4:5]
	global_store_b64 v[6:7], v[10:11], off
	global_wb scope:SCOPE_SYS
	s_wait_storecnt 0x0
	s_wait_xcnt 0x0
	global_atomic_cmpswap_b64 v[4:5], v1, v[8:11], s[2:3] offset:24 th:TH_ATOMIC_RETURN scope:SCOPE_SYS
	s_wait_loadcnt 0x0
	v_cmp_ne_u64_e32 vcc_lo, v[4:5], v[10:11]
	s_and_b32 exec_lo, exec_lo, vcc_lo
	s_cbranch_execz .LBB8_532
; %bb.530:
	s_mov_b32 s8, 0
.LBB8_531:                              ; =>This Inner Loop Header: Depth=1
	v_dual_mov_b32 v2, s0 :: v_dual_mov_b32 v3, s1
	s_sleep 1
	global_store_b64 v[6:7], v[4:5], off
	global_wb scope:SCOPE_SYS
	s_wait_storecnt 0x0
	s_wait_xcnt 0x0
	global_atomic_cmpswap_b64 v[2:3], v1, v[2:5], s[2:3] offset:24 th:TH_ATOMIC_RETURN scope:SCOPE_SYS
	s_wait_loadcnt 0x0
	v_cmp_eq_u64_e32 vcc_lo, v[2:3], v[4:5]
	v_mov_b64_e32 v[4:5], v[2:3]
	s_or_b32 s8, vcc_lo, s8
	s_delay_alu instid0(SALU_CYCLE_1)
	s_and_not1_b32 exec_lo, exec_lo, s8
	s_cbranch_execnz .LBB8_531
.LBB8_532:
	s_or_b32 exec_lo, exec_lo, s10
	v_readfirstlane_b32 s0, v29
	v_mov_b64_e32 v[6:7], 0
	s_wait_loadcnt 0x0
	s_wait_storecnt 0x0
	s_barrier_signal -1
	s_barrier_wait -1
	v_cmp_eq_u32_e64 s0, s0, v29
	s_and_saveexec_b32 s1, s0
	s_cbranch_execz .LBB8_538
; %bb.533:
	v_mov_b32_e32 v1, 0
	s_mov_b32 s8, exec_lo
	global_load_b64 v[4:5], v1, s[2:3] offset:24 scope:SCOPE_SYS
	s_wait_loadcnt 0x0
	global_inv scope:SCOPE_SYS
	s_clause 0x1
	global_load_b64 v[2:3], v1, s[2:3] offset:40
	global_load_b64 v[6:7], v1, s[2:3]
	s_wait_loadcnt 0x1
	v_and_b32_e32 v2, v2, v4
	v_and_b32_e32 v3, v3, v5
	s_delay_alu instid0(VALU_DEP_1) | instskip(SKIP_1) | instid1(VALU_DEP_1)
	v_mul_u64_e32 v[2:3], 24, v[2:3]
	s_wait_loadcnt 0x0
	v_add_nc_u64_e32 v[2:3], v[6:7], v[2:3]
	global_load_b64 v[2:3], v[2:3], off scope:SCOPE_SYS
	s_wait_xcnt 0x0
	s_wait_loadcnt 0x0
	global_atomic_cmpswap_b64 v[6:7], v1, v[2:5], s[2:3] offset:24 th:TH_ATOMIC_RETURN scope:SCOPE_SYS
	s_wait_loadcnt 0x0
	global_inv scope:SCOPE_SYS
	s_wait_xcnt 0x0
	v_cmpx_ne_u64_e64 v[6:7], v[4:5]
	s_cbranch_execz .LBB8_537
; %bb.534:
	s_mov_b32 s9, 0
.LBB8_535:                              ; =>This Inner Loop Header: Depth=1
	s_sleep 1
	s_clause 0x1
	global_load_b64 v[2:3], v1, s[2:3] offset:40
	global_load_b64 v[8:9], v1, s[2:3]
	v_mov_b64_e32 v[4:5], v[6:7]
	s_wait_loadcnt 0x1
	s_delay_alu instid0(VALU_DEP_1) | instskip(SKIP_1) | instid1(VALU_DEP_1)
	v_and_b32_e32 v2, v2, v4
	s_wait_loadcnt 0x0
	v_mad_nc_u64_u32 v[6:7], v2, 24, v[8:9]
	s_delay_alu instid0(VALU_DEP_3) | instskip(NEXT) | instid1(VALU_DEP_1)
	v_and_b32_e32 v2, v3, v5
	v_mad_u32 v7, v2, 24, v7
	global_load_b64 v[2:3], v[6:7], off scope:SCOPE_SYS
	s_wait_xcnt 0x0
	s_wait_loadcnt 0x0
	global_atomic_cmpswap_b64 v[6:7], v1, v[2:5], s[2:3] offset:24 th:TH_ATOMIC_RETURN scope:SCOPE_SYS
	s_wait_loadcnt 0x0
	global_inv scope:SCOPE_SYS
	v_cmp_eq_u64_e32 vcc_lo, v[6:7], v[4:5]
	s_or_b32 s9, vcc_lo, s9
	s_wait_xcnt 0x0
	s_and_not1_b32 exec_lo, exec_lo, s9
	s_cbranch_execnz .LBB8_535
; %bb.536:
	s_or_b32 exec_lo, exec_lo, s9
.LBB8_537:
	s_delay_alu instid0(SALU_CYCLE_1)
	s_or_b32 exec_lo, exec_lo, s8
.LBB8_538:
	s_delay_alu instid0(SALU_CYCLE_1)
	s_or_b32 exec_lo, exec_lo, s1
	v_readfirstlane_b32 s8, v6
	v_mov_b32_e32 v1, 0
	v_readfirstlane_b32 s9, v7
	s_mov_b32 s1, exec_lo
	s_clause 0x1
	global_load_b64 v[8:9], v1, s[2:3] offset:40
	global_load_b128 v[2:5], v1, s[2:3]
	s_wait_loadcnt 0x1
	v_and_b32_e32 v8, s8, v8
	v_and_b32_e32 v9, s9, v9
	s_delay_alu instid0(VALU_DEP_1) | instskip(SKIP_1) | instid1(VALU_DEP_1)
	v_mul_u64_e32 v[6:7], 24, v[8:9]
	s_wait_loadcnt 0x0
	v_add_nc_u64_e32 v[6:7], v[2:3], v[6:7]
	s_and_saveexec_b32 s10, s0
	s_cbranch_execz .LBB8_540
; %bb.539:
	v_mov_b64_e32 v[12:13], 0x100000002
	v_dual_mov_b32 v10, s1 :: v_dual_mov_b32 v11, v1
	global_store_b128 v[6:7], v[10:13], off offset:8
.LBB8_540:
	s_wait_xcnt 0x0
	s_or_b32 exec_lo, exec_lo, s10
	v_lshlrev_b64_e32 v[8:9], 12, v[8:9]
	s_mov_b32 s12, 0
	v_dual_mov_b32 v10, 33 :: v_dual_mov_b32 v11, v1
	s_mov_b32 s14, s12
	s_mov_b32 s15, s12
	;; [unrolled: 1-line block ×3, first 2 shown]
	s_delay_alu instid0(VALU_DEP_2) | instskip(SKIP_3) | instid1(VALU_DEP_4)
	v_add_nc_u64_e32 v[8:9], v[4:5], v[8:9]
	v_mov_b64_e32 v[16:17], s[14:15]
	v_mov_b64_e32 v[14:15], s[12:13]
	v_dual_mov_b32 v12, v1 :: v_dual_mov_b32 v13, v1
	v_readfirstlane_b32 s10, v8
	v_readfirstlane_b32 s11, v9
	s_clause 0x3
	global_store_b128 v0, v[10:13], s[10:11]
	global_store_b128 v0, v[14:17], s[10:11] offset:16
	global_store_b128 v0, v[14:17], s[10:11] offset:32
	;; [unrolled: 1-line block ×3, first 2 shown]
	s_wait_xcnt 0x0
	s_and_saveexec_b32 s1, s0
	s_cbranch_execz .LBB8_548
; %bb.541:
	v_dual_mov_b32 v12, 0 :: v_dual_mov_b32 v15, s9
	s_mov_b32 s10, exec_lo
	s_clause 0x1
	global_load_b64 v[16:17], v12, s[2:3] offset:32 scope:SCOPE_SYS
	global_load_b64 v[4:5], v12, s[2:3] offset:40
	s_wait_loadcnt 0x0
	v_dual_mov_b32 v14, s8 :: v_dual_bitop2_b32 v5, s9, v5 bitop3:0x40
	v_and_b32_e32 v4, s8, v4
	s_delay_alu instid0(VALU_DEP_1) | instskip(NEXT) | instid1(VALU_DEP_1)
	v_mul_u64_e32 v[4:5], 24, v[4:5]
	v_add_nc_u64_e32 v[10:11], v[2:3], v[4:5]
	global_store_b64 v[10:11], v[16:17], off
	global_wb scope:SCOPE_SYS
	s_wait_storecnt 0x0
	s_wait_xcnt 0x0
	global_atomic_cmpswap_b64 v[4:5], v12, v[14:17], s[2:3] offset:32 th:TH_ATOMIC_RETURN scope:SCOPE_SYS
	s_wait_loadcnt 0x0
	v_cmpx_ne_u64_e64 v[4:5], v[16:17]
	s_cbranch_execz .LBB8_544
; %bb.542:
	s_mov_b32 s11, 0
.LBB8_543:                              ; =>This Inner Loop Header: Depth=1
	v_dual_mov_b32 v2, s8 :: v_dual_mov_b32 v3, s9
	s_sleep 1
	global_store_b64 v[10:11], v[4:5], off
	global_wb scope:SCOPE_SYS
	s_wait_storecnt 0x0
	s_wait_xcnt 0x0
	global_atomic_cmpswap_b64 v[2:3], v12, v[2:5], s[2:3] offset:32 th:TH_ATOMIC_RETURN scope:SCOPE_SYS
	s_wait_loadcnt 0x0
	v_cmp_eq_u64_e32 vcc_lo, v[2:3], v[4:5]
	v_mov_b64_e32 v[4:5], v[2:3]
	s_or_b32 s11, vcc_lo, s11
	s_delay_alu instid0(SALU_CYCLE_1)
	s_and_not1_b32 exec_lo, exec_lo, s11
	s_cbranch_execnz .LBB8_543
.LBB8_544:
	s_or_b32 exec_lo, exec_lo, s10
	v_mov_b32_e32 v5, 0
	s_mov_b32 s11, exec_lo
	s_mov_b32 s10, exec_lo
	v_mbcnt_lo_u32_b32 v4, s11, 0
	global_load_b64 v[2:3], v5, s[2:3] offset:16
	s_wait_xcnt 0x0
	v_cmpx_eq_u32_e32 0, v4
	s_cbranch_execz .LBB8_546
; %bb.545:
	s_bcnt1_i32_b32 s11, s11
	s_delay_alu instid0(SALU_CYCLE_1)
	v_mov_b32_e32 v4, s11
	global_wb scope:SCOPE_SYS
	s_wait_loadcnt 0x0
	s_wait_storecnt 0x0
	global_atomic_add_u64 v[2:3], v[4:5], off offset:8 scope:SCOPE_SYS
.LBB8_546:
	s_wait_xcnt 0x0
	s_or_b32 exec_lo, exec_lo, s10
	s_wait_loadcnt 0x0
	global_load_b64 v[4:5], v[2:3], off offset:16
	s_wait_loadcnt 0x0
	v_cmp_eq_u64_e32 vcc_lo, 0, v[4:5]
	s_cbranch_vccnz .LBB8_548
; %bb.547:
	global_load_b32 v2, v[2:3], off offset:24
	s_wait_xcnt 0x0
	v_mov_b32_e32 v3, 0
	s_wait_loadcnt 0x0
	v_readfirstlane_b32 s10, v2
	global_wb scope:SCOPE_SYS
	s_wait_storecnt 0x0
	global_store_b64 v[4:5], v[2:3], off scope:SCOPE_SYS
	s_and_b32 m0, s10, 0xffffff
	s_sendmsg sendmsg(MSG_INTERRUPT)
.LBB8_548:
	s_wait_xcnt 0x0
	s_or_b32 exec_lo, exec_lo, s1
	v_add_nc_u64_e32 v[2:3], v[8:9], v[0:1]
	s_branch .LBB8_552
.LBB8_549:                              ;   in Loop: Header=BB8_552 Depth=1
	s_wait_xcnt 0x0
	s_or_b32 exec_lo, exec_lo, s1
	s_delay_alu instid0(VALU_DEP_1)
	v_readfirstlane_b32 s1, v1
	s_cmp_eq_u32 s1, 0
	s_cbranch_scc1 .LBB8_551
; %bb.550:                              ;   in Loop: Header=BB8_552 Depth=1
	s_sleep 1
	s_cbranch_execnz .LBB8_552
	s_branch .LBB8_554
.LBB8_551:
	s_branch .LBB8_554
.LBB8_552:                              ; =>This Inner Loop Header: Depth=1
	v_mov_b32_e32 v1, 1
	s_and_saveexec_b32 s1, s0
	s_cbranch_execz .LBB8_549
; %bb.553:                              ;   in Loop: Header=BB8_552 Depth=1
	global_load_b32 v1, v[6:7], off offset:20 scope:SCOPE_SYS
	s_wait_loadcnt 0x0
	global_inv scope:SCOPE_SYS
	v_and_b32_e32 v1, 1, v1
	s_branch .LBB8_549
.LBB8_554:
	global_load_b64 v[6:7], v[2:3], off
	s_wait_xcnt 0x0
	s_and_saveexec_b32 s10, s0
	s_cbranch_execz .LBB8_558
; %bb.555:
	v_mov_b32_e32 v1, 0
	s_clause 0x2
	global_load_b64 v[2:3], v1, s[2:3] offset:40
	global_load_b64 v[12:13], v1, s[2:3] offset:24 scope:SCOPE_SYS
	global_load_b64 v[4:5], v1, s[2:3]
	s_wait_loadcnt 0x2
	v_readfirstlane_b32 s12, v2
	v_readfirstlane_b32 s13, v3
	s_add_nc_u64 s[0:1], s[12:13], 1
	s_delay_alu instid0(SALU_CYCLE_1) | instskip(NEXT) | instid1(SALU_CYCLE_1)
	s_add_nc_u64 s[8:9], s[0:1], s[8:9]
	s_cmp_eq_u64 s[8:9], 0
	s_cselect_b32 s1, s1, s9
	s_cselect_b32 s0, s0, s8
	v_mov_b32_e32 v11, s1
	s_and_b64 s[8:9], s[0:1], s[12:13]
	v_mov_b32_e32 v10, s0
	s_mul_u64 s[8:9], s[8:9], 24
	s_wait_loadcnt 0x0
	v_add_nc_u64_e32 v[8:9], s[8:9], v[4:5]
	global_store_b64 v[8:9], v[12:13], off
	global_wb scope:SCOPE_SYS
	s_wait_storecnt 0x0
	s_wait_xcnt 0x0
	global_atomic_cmpswap_b64 v[4:5], v1, v[10:13], s[2:3] offset:24 th:TH_ATOMIC_RETURN scope:SCOPE_SYS
	s_wait_loadcnt 0x0
	v_cmp_ne_u64_e32 vcc_lo, v[4:5], v[12:13]
	s_and_b32 exec_lo, exec_lo, vcc_lo
	s_cbranch_execz .LBB8_558
; %bb.556:
	s_mov_b32 s8, 0
.LBB8_557:                              ; =>This Inner Loop Header: Depth=1
	v_dual_mov_b32 v2, s0 :: v_dual_mov_b32 v3, s1
	s_sleep 1
	global_store_b64 v[8:9], v[4:5], off
	global_wb scope:SCOPE_SYS
	s_wait_storecnt 0x0
	s_wait_xcnt 0x0
	global_atomic_cmpswap_b64 v[2:3], v1, v[2:5], s[2:3] offset:24 th:TH_ATOMIC_RETURN scope:SCOPE_SYS
	s_wait_loadcnt 0x0
	v_cmp_eq_u64_e32 vcc_lo, v[2:3], v[4:5]
	v_mov_b64_e32 v[4:5], v[2:3]
	s_or_b32 s8, vcc_lo, s8
	s_delay_alu instid0(SALU_CYCLE_1)
	s_and_not1_b32 exec_lo, exec_lo, s8
	s_cbranch_execnz .LBB8_557
.LBB8_558:
	s_or_b32 exec_lo, exec_lo, s10
	s_delay_alu instid0(SALU_CYCLE_1)
	s_and_b32 vcc_lo, exec_lo, s18
	s_cbranch_vccz .LBB8_716
; %bb.559:
	v_mov_b64_e32 v[10:11], 0x100000002
	s_wait_loadcnt 0x0
	v_dual_mov_b32 v9, 0 :: v_dual_bitop2_b32 v28, 2, v6 bitop3:0x40
	v_dual_mov_b32 v3, v7 :: v_dual_bitop2_b32 v2, -3, v6 bitop3:0x40
	s_mov_b64 s[8:9], 6
	s_branch .LBB8_561
.LBB8_560:                              ;   in Loop: Header=BB8_561 Depth=1
	s_or_b32 exec_lo, exec_lo, s14
	s_sub_nc_u64 s[8:9], s[8:9], s[10:11]
	s_add_nc_u64 s[4:5], s[4:5], s[10:11]
	s_cmp_lg_u64 s[8:9], 0
	s_cbranch_scc0 .LBB8_636
.LBB8_561:                              ; =>This Loop Header: Depth=1
                                        ;     Child Loop BB8_564 Depth 2
                                        ;     Child Loop BB8_571 Depth 2
	;; [unrolled: 1-line block ×11, first 2 shown]
	v_min_u64 v[4:5], s[8:9], 56
	v_cmp_gt_u64_e64 s0, s[8:9], 7
	s_and_b32 vcc_lo, exec_lo, s0
	v_readfirstlane_b32 s10, v4
	v_readfirstlane_b32 s11, v5
	s_cbranch_vccnz .LBB8_566
; %bb.562:                              ;   in Loop: Header=BB8_561 Depth=1
	v_mov_b64_e32 v[4:5], 0
	s_cmp_eq_u64 s[8:9], 0
	s_cbranch_scc1 .LBB8_565
; %bb.563:                              ;   in Loop: Header=BB8_561 Depth=1
	s_mov_b64 s[0:1], 0
	s_mov_b64 s[12:13], 0
.LBB8_564:                              ;   Parent Loop BB8_561 Depth=1
                                        ; =>  This Inner Loop Header: Depth=2
	s_wait_xcnt 0x0
	s_add_nc_u64 s[14:15], s[4:5], s[12:13]
	s_add_nc_u64 s[12:13], s[12:13], 1
	global_load_u8 v1, v9, s[14:15]
	s_cmp_lg_u32 s10, s12
	s_wait_loadcnt 0x0
	v_and_b32_e32 v8, 0xffff, v1
	s_delay_alu instid0(VALU_DEP_1) | instskip(SKIP_1) | instid1(VALU_DEP_1)
	v_lshlrev_b64_e32 v[12:13], s0, v[8:9]
	s_add_nc_u64 s[0:1], s[0:1], 8
	v_or_b32_e32 v4, v12, v4
	s_delay_alu instid0(VALU_DEP_2)
	v_or_b32_e32 v5, v13, v5
	s_cbranch_scc1 .LBB8_564
.LBB8_565:                              ;   in Loop: Header=BB8_561 Depth=1
	s_mov_b64 s[12:13], s[4:5]
	s_mov_b32 s16, 0
	s_cbranch_execz .LBB8_567
	s_branch .LBB8_568
.LBB8_566:                              ;   in Loop: Header=BB8_561 Depth=1
	s_add_nc_u64 s[12:13], s[4:5], 8
	s_mov_b32 s16, 0
.LBB8_567:                              ;   in Loop: Header=BB8_561 Depth=1
	global_load_b64 v[4:5], v9, s[4:5]
	s_add_co_i32 s16, s10, -8
.LBB8_568:                              ;   in Loop: Header=BB8_561 Depth=1
	s_delay_alu instid0(SALU_CYCLE_1)
	s_cmp_gt_u32 s16, 7
	s_cbranch_scc1 .LBB8_573
; %bb.569:                              ;   in Loop: Header=BB8_561 Depth=1
	v_mov_b64_e32 v[12:13], 0
	s_cmp_eq_u32 s16, 0
	s_cbranch_scc1 .LBB8_572
; %bb.570:                              ;   in Loop: Header=BB8_561 Depth=1
	s_mov_b64 s[0:1], 0
	s_wait_xcnt 0x0
	s_mov_b64 s[14:15], 0
.LBB8_571:                              ;   Parent Loop BB8_561 Depth=1
                                        ; =>  This Inner Loop Header: Depth=2
	s_wait_xcnt 0x0
	s_add_nc_u64 s[20:21], s[12:13], s[14:15]
	s_add_nc_u64 s[14:15], s[14:15], 1
	global_load_u8 v1, v9, s[20:21]
	s_cmp_lg_u32 s16, s14
	s_wait_loadcnt 0x0
	v_and_b32_e32 v8, 0xffff, v1
	s_delay_alu instid0(VALU_DEP_1) | instskip(SKIP_1) | instid1(VALU_DEP_1)
	v_lshlrev_b64_e32 v[14:15], s0, v[8:9]
	s_add_nc_u64 s[0:1], s[0:1], 8
	v_or_b32_e32 v12, v14, v12
	s_delay_alu instid0(VALU_DEP_2)
	v_or_b32_e32 v13, v15, v13
	s_cbranch_scc1 .LBB8_571
.LBB8_572:                              ;   in Loop: Header=BB8_561 Depth=1
	s_wait_xcnt 0x0
	s_mov_b64 s[0:1], s[12:13]
	s_mov_b32 s17, 0
	s_cbranch_execz .LBB8_574
	s_branch .LBB8_575
.LBB8_573:                              ;   in Loop: Header=BB8_561 Depth=1
	s_add_nc_u64 s[0:1], s[12:13], 8
	s_wait_xcnt 0x0
                                        ; implicit-def: $vgpr12_vgpr13
	s_mov_b32 s17, 0
.LBB8_574:                              ;   in Loop: Header=BB8_561 Depth=1
	global_load_b64 v[12:13], v9, s[12:13]
	s_add_co_i32 s17, s16, -8
.LBB8_575:                              ;   in Loop: Header=BB8_561 Depth=1
	s_delay_alu instid0(SALU_CYCLE_1)
	s_cmp_gt_u32 s17, 7
	s_cbranch_scc1 .LBB8_580
; %bb.576:                              ;   in Loop: Header=BB8_561 Depth=1
	v_mov_b64_e32 v[14:15], 0
	s_cmp_eq_u32 s17, 0
	s_cbranch_scc1 .LBB8_579
; %bb.577:                              ;   in Loop: Header=BB8_561 Depth=1
	s_wait_xcnt 0x0
	s_mov_b64 s[12:13], 0
	s_mov_b64 s[14:15], 0
.LBB8_578:                              ;   Parent Loop BB8_561 Depth=1
                                        ; =>  This Inner Loop Header: Depth=2
	s_wait_xcnt 0x0
	s_add_nc_u64 s[20:21], s[0:1], s[14:15]
	s_add_nc_u64 s[14:15], s[14:15], 1
	global_load_u8 v1, v9, s[20:21]
	s_cmp_lg_u32 s17, s14
	s_wait_loadcnt 0x0
	v_and_b32_e32 v8, 0xffff, v1
	s_delay_alu instid0(VALU_DEP_1) | instskip(SKIP_1) | instid1(VALU_DEP_1)
	v_lshlrev_b64_e32 v[16:17], s12, v[8:9]
	s_add_nc_u64 s[12:13], s[12:13], 8
	v_or_b32_e32 v14, v16, v14
	s_delay_alu instid0(VALU_DEP_2)
	v_or_b32_e32 v15, v17, v15
	s_cbranch_scc1 .LBB8_578
.LBB8_579:                              ;   in Loop: Header=BB8_561 Depth=1
	s_wait_xcnt 0x0
	s_mov_b64 s[12:13], s[0:1]
	s_mov_b32 s16, 0
	s_cbranch_execz .LBB8_581
	s_branch .LBB8_582
.LBB8_580:                              ;   in Loop: Header=BB8_561 Depth=1
	s_wait_xcnt 0x0
	s_add_nc_u64 s[12:13], s[0:1], 8
	s_mov_b32 s16, 0
.LBB8_581:                              ;   in Loop: Header=BB8_561 Depth=1
	global_load_b64 v[14:15], v9, s[0:1]
	s_add_co_i32 s16, s17, -8
.LBB8_582:                              ;   in Loop: Header=BB8_561 Depth=1
	s_delay_alu instid0(SALU_CYCLE_1)
	s_cmp_gt_u32 s16, 7
	s_cbranch_scc1 .LBB8_587
; %bb.583:                              ;   in Loop: Header=BB8_561 Depth=1
	v_mov_b64_e32 v[16:17], 0
	s_cmp_eq_u32 s16, 0
	s_cbranch_scc1 .LBB8_586
; %bb.584:                              ;   in Loop: Header=BB8_561 Depth=1
	s_wait_xcnt 0x0
	s_mov_b64 s[0:1], 0
	s_mov_b64 s[14:15], 0
.LBB8_585:                              ;   Parent Loop BB8_561 Depth=1
                                        ; =>  This Inner Loop Header: Depth=2
	s_wait_xcnt 0x0
	s_add_nc_u64 s[20:21], s[12:13], s[14:15]
	s_add_nc_u64 s[14:15], s[14:15], 1
	global_load_u8 v1, v9, s[20:21]
	s_cmp_lg_u32 s16, s14
	s_wait_loadcnt 0x0
	v_and_b32_e32 v8, 0xffff, v1
	s_delay_alu instid0(VALU_DEP_1) | instskip(SKIP_1) | instid1(VALU_DEP_1)
	v_lshlrev_b64_e32 v[18:19], s0, v[8:9]
	s_add_nc_u64 s[0:1], s[0:1], 8
	v_or_b32_e32 v16, v18, v16
	s_delay_alu instid0(VALU_DEP_2)
	v_or_b32_e32 v17, v19, v17
	s_cbranch_scc1 .LBB8_585
.LBB8_586:                              ;   in Loop: Header=BB8_561 Depth=1
	s_wait_xcnt 0x0
	s_mov_b64 s[0:1], s[12:13]
	s_mov_b32 s17, 0
	s_cbranch_execz .LBB8_588
	s_branch .LBB8_589
.LBB8_587:                              ;   in Loop: Header=BB8_561 Depth=1
	s_wait_xcnt 0x0
	s_add_nc_u64 s[0:1], s[12:13], 8
                                        ; implicit-def: $vgpr16_vgpr17
	s_mov_b32 s17, 0
.LBB8_588:                              ;   in Loop: Header=BB8_561 Depth=1
	global_load_b64 v[16:17], v9, s[12:13]
	s_add_co_i32 s17, s16, -8
.LBB8_589:                              ;   in Loop: Header=BB8_561 Depth=1
	s_delay_alu instid0(SALU_CYCLE_1)
	s_cmp_gt_u32 s17, 7
	s_cbranch_scc1 .LBB8_594
; %bb.590:                              ;   in Loop: Header=BB8_561 Depth=1
	v_mov_b64_e32 v[18:19], 0
	s_cmp_eq_u32 s17, 0
	s_cbranch_scc1 .LBB8_593
; %bb.591:                              ;   in Loop: Header=BB8_561 Depth=1
	s_wait_xcnt 0x0
	s_mov_b64 s[12:13], 0
	s_mov_b64 s[14:15], 0
.LBB8_592:                              ;   Parent Loop BB8_561 Depth=1
                                        ; =>  This Inner Loop Header: Depth=2
	s_wait_xcnt 0x0
	s_add_nc_u64 s[20:21], s[0:1], s[14:15]
	s_add_nc_u64 s[14:15], s[14:15], 1
	global_load_u8 v1, v9, s[20:21]
	s_cmp_lg_u32 s17, s14
	s_wait_loadcnt 0x0
	v_and_b32_e32 v8, 0xffff, v1
	s_delay_alu instid0(VALU_DEP_1) | instskip(SKIP_1) | instid1(VALU_DEP_1)
	v_lshlrev_b64_e32 v[20:21], s12, v[8:9]
	s_add_nc_u64 s[12:13], s[12:13], 8
	v_or_b32_e32 v18, v20, v18
	s_delay_alu instid0(VALU_DEP_2)
	v_or_b32_e32 v19, v21, v19
	s_cbranch_scc1 .LBB8_592
.LBB8_593:                              ;   in Loop: Header=BB8_561 Depth=1
	s_wait_xcnt 0x0
	s_mov_b64 s[12:13], s[0:1]
	s_mov_b32 s16, 0
	s_cbranch_execz .LBB8_595
	s_branch .LBB8_596
.LBB8_594:                              ;   in Loop: Header=BB8_561 Depth=1
	s_wait_xcnt 0x0
	s_add_nc_u64 s[12:13], s[0:1], 8
	s_mov_b32 s16, 0
.LBB8_595:                              ;   in Loop: Header=BB8_561 Depth=1
	global_load_b64 v[18:19], v9, s[0:1]
	s_add_co_i32 s16, s17, -8
.LBB8_596:                              ;   in Loop: Header=BB8_561 Depth=1
	s_delay_alu instid0(SALU_CYCLE_1)
	s_cmp_gt_u32 s16, 7
	s_cbranch_scc1 .LBB8_601
; %bb.597:                              ;   in Loop: Header=BB8_561 Depth=1
	v_mov_b64_e32 v[20:21], 0
	s_cmp_eq_u32 s16, 0
	s_cbranch_scc1 .LBB8_600
; %bb.598:                              ;   in Loop: Header=BB8_561 Depth=1
	s_wait_xcnt 0x0
	s_mov_b64 s[0:1], 0
	s_mov_b64 s[14:15], 0
.LBB8_599:                              ;   Parent Loop BB8_561 Depth=1
                                        ; =>  This Inner Loop Header: Depth=2
	s_wait_xcnt 0x0
	s_add_nc_u64 s[20:21], s[12:13], s[14:15]
	s_add_nc_u64 s[14:15], s[14:15], 1
	global_load_u8 v1, v9, s[20:21]
	s_cmp_lg_u32 s16, s14
	s_wait_loadcnt 0x0
	v_and_b32_e32 v8, 0xffff, v1
	s_delay_alu instid0(VALU_DEP_1) | instskip(SKIP_1) | instid1(VALU_DEP_1)
	v_lshlrev_b64_e32 v[22:23], s0, v[8:9]
	s_add_nc_u64 s[0:1], s[0:1], 8
	v_or_b32_e32 v20, v22, v20
	s_delay_alu instid0(VALU_DEP_2)
	v_or_b32_e32 v21, v23, v21
	s_cbranch_scc1 .LBB8_599
.LBB8_600:                              ;   in Loop: Header=BB8_561 Depth=1
	s_wait_xcnt 0x0
	s_mov_b64 s[0:1], s[12:13]
	s_mov_b32 s17, 0
	s_cbranch_execz .LBB8_602
	s_branch .LBB8_603
.LBB8_601:                              ;   in Loop: Header=BB8_561 Depth=1
	s_wait_xcnt 0x0
	s_add_nc_u64 s[0:1], s[12:13], 8
                                        ; implicit-def: $vgpr20_vgpr21
	s_mov_b32 s17, 0
.LBB8_602:                              ;   in Loop: Header=BB8_561 Depth=1
	global_load_b64 v[20:21], v9, s[12:13]
	s_add_co_i32 s17, s16, -8
.LBB8_603:                              ;   in Loop: Header=BB8_561 Depth=1
	s_delay_alu instid0(SALU_CYCLE_1)
	s_cmp_gt_u32 s17, 7
	s_cbranch_scc1 .LBB8_608
; %bb.604:                              ;   in Loop: Header=BB8_561 Depth=1
	v_mov_b64_e32 v[22:23], 0
	s_cmp_eq_u32 s17, 0
	s_cbranch_scc1 .LBB8_607
; %bb.605:                              ;   in Loop: Header=BB8_561 Depth=1
	s_wait_xcnt 0x0
	s_mov_b64 s[12:13], 0
	s_mov_b64 s[14:15], s[0:1]
.LBB8_606:                              ;   Parent Loop BB8_561 Depth=1
                                        ; =>  This Inner Loop Header: Depth=2
	global_load_u8 v1, v9, s[14:15]
	s_add_co_i32 s17, s17, -1
	s_wait_xcnt 0x0
	s_add_nc_u64 s[14:15], s[14:15], 1
	s_cmp_lg_u32 s17, 0
	s_wait_loadcnt 0x0
	v_and_b32_e32 v8, 0xffff, v1
	s_delay_alu instid0(VALU_DEP_1) | instskip(SKIP_1) | instid1(VALU_DEP_1)
	v_lshlrev_b64_e32 v[24:25], s12, v[8:9]
	s_add_nc_u64 s[12:13], s[12:13], 8
	v_or_b32_e32 v22, v24, v22
	s_delay_alu instid0(VALU_DEP_2)
	v_or_b32_e32 v23, v25, v23
	s_cbranch_scc1 .LBB8_606
.LBB8_607:                              ;   in Loop: Header=BB8_561 Depth=1
	s_wait_xcnt 0x0
	s_cbranch_execz .LBB8_609
	s_branch .LBB8_610
.LBB8_608:                              ;   in Loop: Header=BB8_561 Depth=1
	s_wait_xcnt 0x0
.LBB8_609:                              ;   in Loop: Header=BB8_561 Depth=1
	global_load_b64 v[22:23], v9, s[0:1]
.LBB8_610:                              ;   in Loop: Header=BB8_561 Depth=1
	s_wait_xcnt 0x0
	v_readfirstlane_b32 s0, v29
	v_mov_b64_e32 v[30:31], 0
	s_delay_alu instid0(VALU_DEP_2)
	v_cmp_eq_u32_e64 s0, s0, v29
	s_and_saveexec_b32 s1, s0
	s_cbranch_execz .LBB8_616
; %bb.611:                              ;   in Loop: Header=BB8_561 Depth=1
	global_load_b64 v[26:27], v9, s[2:3] offset:24 scope:SCOPE_SYS
	s_wait_loadcnt 0x0
	global_inv scope:SCOPE_SYS
	s_clause 0x1
	global_load_b64 v[24:25], v9, s[2:3] offset:40
	global_load_b64 v[30:31], v9, s[2:3]
	s_mov_b32 s12, exec_lo
	s_wait_loadcnt 0x1
	v_and_b32_e32 v24, v24, v26
	v_and_b32_e32 v25, v25, v27
	s_delay_alu instid0(VALU_DEP_1) | instskip(SKIP_1) | instid1(VALU_DEP_1)
	v_mul_u64_e32 v[24:25], 24, v[24:25]
	s_wait_loadcnt 0x0
	v_add_nc_u64_e32 v[24:25], v[30:31], v[24:25]
	global_load_b64 v[24:25], v[24:25], off scope:SCOPE_SYS
	s_wait_xcnt 0x0
	s_wait_loadcnt 0x0
	global_atomic_cmpswap_b64 v[30:31], v9, v[24:27], s[2:3] offset:24 th:TH_ATOMIC_RETURN scope:SCOPE_SYS
	s_wait_loadcnt 0x0
	global_inv scope:SCOPE_SYS
	s_wait_xcnt 0x0
	v_cmpx_ne_u64_e64 v[30:31], v[26:27]
	s_cbranch_execz .LBB8_615
; %bb.612:                              ;   in Loop: Header=BB8_561 Depth=1
	s_mov_b32 s13, 0
.LBB8_613:                              ;   Parent Loop BB8_561 Depth=1
                                        ; =>  This Inner Loop Header: Depth=2
	s_sleep 1
	s_clause 0x1
	global_load_b64 v[24:25], v9, s[2:3] offset:40
	global_load_b64 v[32:33], v9, s[2:3]
	v_mov_b64_e32 v[26:27], v[30:31]
	s_wait_loadcnt 0x1
	s_delay_alu instid0(VALU_DEP_1) | instskip(SKIP_1) | instid1(VALU_DEP_1)
	v_and_b32_e32 v1, v24, v26
	s_wait_loadcnt 0x0
	v_mad_nc_u64_u32 v[30:31], v1, 24, v[32:33]
	s_delay_alu instid0(VALU_DEP_3) | instskip(NEXT) | instid1(VALU_DEP_1)
	v_and_b32_e32 v1, v25, v27
	v_mad_u32 v31, v1, 24, v31
	global_load_b64 v[24:25], v[30:31], off scope:SCOPE_SYS
	s_wait_xcnt 0x0
	s_wait_loadcnt 0x0
	global_atomic_cmpswap_b64 v[30:31], v9, v[24:27], s[2:3] offset:24 th:TH_ATOMIC_RETURN scope:SCOPE_SYS
	s_wait_loadcnt 0x0
	global_inv scope:SCOPE_SYS
	v_cmp_eq_u64_e32 vcc_lo, v[30:31], v[26:27]
	s_or_b32 s13, vcc_lo, s13
	s_wait_xcnt 0x0
	s_and_not1_b32 exec_lo, exec_lo, s13
	s_cbranch_execnz .LBB8_613
; %bb.614:                              ;   in Loop: Header=BB8_561 Depth=1
	s_or_b32 exec_lo, exec_lo, s13
.LBB8_615:                              ;   in Loop: Header=BB8_561 Depth=1
	s_delay_alu instid0(SALU_CYCLE_1)
	s_or_b32 exec_lo, exec_lo, s12
.LBB8_616:                              ;   in Loop: Header=BB8_561 Depth=1
	s_delay_alu instid0(SALU_CYCLE_1)
	s_or_b32 exec_lo, exec_lo, s1
	s_clause 0x1
	global_load_b64 v[32:33], v9, s[2:3] offset:40
	global_load_b128 v[24:27], v9, s[2:3]
	v_readfirstlane_b32 s12, v30
	v_readfirstlane_b32 s13, v31
	s_mov_b32 s1, exec_lo
	s_wait_loadcnt 0x1
	v_and_b32_e32 v32, s12, v32
	v_and_b32_e32 v33, s13, v33
	s_delay_alu instid0(VALU_DEP_1) | instskip(SKIP_1) | instid1(VALU_DEP_1)
	v_mul_u64_e32 v[30:31], 24, v[32:33]
	s_wait_loadcnt 0x0
	v_add_nc_u64_e32 v[30:31], v[24:25], v[30:31]
	s_wait_xcnt 0x0
	s_and_saveexec_b32 s14, s0
	s_cbranch_execz .LBB8_618
; %bb.617:                              ;   in Loop: Header=BB8_561 Depth=1
	v_mov_b32_e32 v8, s1
	global_store_b128 v[30:31], v[8:11], off offset:8
.LBB8_618:                              ;   in Loop: Header=BB8_561 Depth=1
	s_wait_xcnt 0x0
	s_or_b32 exec_lo, exec_lo, s14
	v_cmp_lt_u64_e64 vcc_lo, s[8:9], 57
	v_lshlrev_b64_e32 v[32:33], 12, v[32:33]
	v_and_b32_e32 v2, 0xffffff1f, v2
	s_lshl_b32 s1, s10, 2
	s_delay_alu instid0(SALU_CYCLE_1) | instskip(SKIP_1) | instid1(VALU_DEP_3)
	s_add_co_i32 s1, s1, 28
	v_cndmask_b32_e32 v1, 0, v28, vcc_lo
	v_add_nc_u64_e32 v[26:27], v[26:27], v[32:33]
	s_delay_alu instid0(VALU_DEP_2) | instskip(NEXT) | instid1(VALU_DEP_2)
	v_or_b32_e32 v1, v2, v1
	v_readfirstlane_b32 s14, v26
	s_delay_alu instid0(VALU_DEP_3) | instskip(NEXT) | instid1(VALU_DEP_3)
	v_readfirstlane_b32 s15, v27
	v_and_or_b32 v2, 0x1e0, s1, v1
	s_clause 0x3
	global_store_b128 v0, v[2:5], s[14:15]
	global_store_b128 v0, v[12:15], s[14:15] offset:16
	global_store_b128 v0, v[16:19], s[14:15] offset:32
	global_store_b128 v0, v[20:23], s[14:15] offset:48
	s_wait_xcnt 0x0
	s_and_saveexec_b32 s1, s0
	s_cbranch_execz .LBB8_626
; %bb.619:                              ;   in Loop: Header=BB8_561 Depth=1
	s_clause 0x1
	global_load_b64 v[16:17], v9, s[2:3] offset:32 scope:SCOPE_SYS
	global_load_b64 v[2:3], v9, s[2:3] offset:40
	s_mov_b32 s14, exec_lo
	v_dual_mov_b32 v14, s12 :: v_dual_mov_b32 v15, s13
	s_wait_loadcnt 0x0
	v_and_b32_e32 v3, s13, v3
	v_and_b32_e32 v2, s12, v2
	s_delay_alu instid0(VALU_DEP_1) | instskip(NEXT) | instid1(VALU_DEP_1)
	v_mul_u64_e32 v[2:3], 24, v[2:3]
	v_add_nc_u64_e32 v[12:13], v[24:25], v[2:3]
	global_store_b64 v[12:13], v[16:17], off
	global_wb scope:SCOPE_SYS
	s_wait_storecnt 0x0
	s_wait_xcnt 0x0
	global_atomic_cmpswap_b64 v[4:5], v9, v[14:17], s[2:3] offset:32 th:TH_ATOMIC_RETURN scope:SCOPE_SYS
	s_wait_loadcnt 0x0
	v_cmpx_ne_u64_e64 v[4:5], v[16:17]
	s_cbranch_execz .LBB8_622
; %bb.620:                              ;   in Loop: Header=BB8_561 Depth=1
	s_mov_b32 s15, 0
.LBB8_621:                              ;   Parent Loop BB8_561 Depth=1
                                        ; =>  This Inner Loop Header: Depth=2
	v_dual_mov_b32 v2, s12 :: v_dual_mov_b32 v3, s13
	s_sleep 1
	global_store_b64 v[12:13], v[4:5], off
	global_wb scope:SCOPE_SYS
	s_wait_storecnt 0x0
	s_wait_xcnt 0x0
	global_atomic_cmpswap_b64 v[2:3], v9, v[2:5], s[2:3] offset:32 th:TH_ATOMIC_RETURN scope:SCOPE_SYS
	s_wait_loadcnt 0x0
	v_cmp_eq_u64_e32 vcc_lo, v[2:3], v[4:5]
	v_mov_b64_e32 v[4:5], v[2:3]
	s_or_b32 s15, vcc_lo, s15
	s_delay_alu instid0(SALU_CYCLE_1)
	s_and_not1_b32 exec_lo, exec_lo, s15
	s_cbranch_execnz .LBB8_621
.LBB8_622:                              ;   in Loop: Header=BB8_561 Depth=1
	s_or_b32 exec_lo, exec_lo, s14
	global_load_b64 v[2:3], v9, s[2:3] offset:16
	s_mov_b32 s15, exec_lo
	s_mov_b32 s14, exec_lo
	v_mbcnt_lo_u32_b32 v1, s15, 0
	s_wait_xcnt 0x0
	s_delay_alu instid0(VALU_DEP_1)
	v_cmpx_eq_u32_e32 0, v1
	s_cbranch_execz .LBB8_624
; %bb.623:                              ;   in Loop: Header=BB8_561 Depth=1
	s_bcnt1_i32_b32 s15, s15
	s_delay_alu instid0(SALU_CYCLE_1)
	v_mov_b32_e32 v8, s15
	global_wb scope:SCOPE_SYS
	s_wait_loadcnt 0x0
	s_wait_storecnt 0x0
	global_atomic_add_u64 v[2:3], v[8:9], off offset:8 scope:SCOPE_SYS
.LBB8_624:                              ;   in Loop: Header=BB8_561 Depth=1
	s_wait_xcnt 0x0
	s_or_b32 exec_lo, exec_lo, s14
	s_wait_loadcnt 0x0
	global_load_b64 v[4:5], v[2:3], off offset:16
	s_wait_loadcnt 0x0
	v_cmp_eq_u64_e32 vcc_lo, 0, v[4:5]
	s_cbranch_vccnz .LBB8_626
; %bb.625:                              ;   in Loop: Header=BB8_561 Depth=1
	global_load_b32 v8, v[2:3], off offset:24
	s_wait_loadcnt 0x0
	v_readfirstlane_b32 s14, v8
	global_wb scope:SCOPE_SYS
	s_wait_storecnt 0x0
	s_wait_xcnt 0x0
	global_store_b64 v[4:5], v[8:9], off scope:SCOPE_SYS
	s_and_b32 m0, s14, 0xffffff
	s_sendmsg sendmsg(MSG_INTERRUPT)
.LBB8_626:                              ;   in Loop: Header=BB8_561 Depth=1
	s_wait_xcnt 0x0
	s_or_b32 exec_lo, exec_lo, s1
	v_mov_b32_e32 v1, v9
	s_delay_alu instid0(VALU_DEP_1)
	v_add_nc_u64_e32 v[2:3], v[26:27], v[0:1]
	s_branch .LBB8_630
.LBB8_627:                              ;   in Loop: Header=BB8_630 Depth=2
	s_wait_xcnt 0x0
	s_or_b32 exec_lo, exec_lo, s1
	s_delay_alu instid0(VALU_DEP_1)
	v_readfirstlane_b32 s1, v1
	s_cmp_eq_u32 s1, 0
	s_cbranch_scc1 .LBB8_629
; %bb.628:                              ;   in Loop: Header=BB8_630 Depth=2
	s_sleep 1
	s_cbranch_execnz .LBB8_630
	s_branch .LBB8_632
.LBB8_629:                              ;   in Loop: Header=BB8_561 Depth=1
	s_branch .LBB8_632
.LBB8_630:                              ;   Parent Loop BB8_561 Depth=1
                                        ; =>  This Inner Loop Header: Depth=2
	v_mov_b32_e32 v1, 1
	s_and_saveexec_b32 s1, s0
	s_cbranch_execz .LBB8_627
; %bb.631:                              ;   in Loop: Header=BB8_630 Depth=2
	global_load_b32 v1, v[30:31], off offset:20 scope:SCOPE_SYS
	s_wait_loadcnt 0x0
	global_inv scope:SCOPE_SYS
	v_and_b32_e32 v1, 1, v1
	s_branch .LBB8_627
.LBB8_632:                              ;   in Loop: Header=BB8_561 Depth=1
	global_load_b64 v[2:3], v[2:3], off
	s_wait_xcnt 0x0
	s_and_saveexec_b32 s14, s0
	s_cbranch_execz .LBB8_560
; %bb.633:                              ;   in Loop: Header=BB8_561 Depth=1
	s_clause 0x2
	global_load_b64 v[4:5], v9, s[2:3] offset:40
	global_load_b64 v[16:17], v9, s[2:3] offset:24 scope:SCOPE_SYS
	global_load_b64 v[12:13], v9, s[2:3]
	s_wait_loadcnt 0x2
	v_readfirstlane_b32 s16, v4
	v_readfirstlane_b32 s17, v5
	s_add_nc_u64 s[0:1], s[16:17], 1
	s_delay_alu instid0(SALU_CYCLE_1) | instskip(NEXT) | instid1(SALU_CYCLE_1)
	s_add_nc_u64 s[12:13], s[0:1], s[12:13]
	s_cmp_eq_u64 s[12:13], 0
	s_cselect_b32 s1, s1, s13
	s_cselect_b32 s0, s0, s12
	s_delay_alu instid0(SALU_CYCLE_1) | instskip(SKIP_1) | instid1(SALU_CYCLE_1)
	v_dual_mov_b32 v15, s1 :: v_dual_mov_b32 v14, s0
	s_and_b64 s[12:13], s[0:1], s[16:17]
	s_mul_u64 s[12:13], s[12:13], 24
	s_wait_loadcnt 0x0
	v_add_nc_u64_e32 v[4:5], s[12:13], v[12:13]
	global_store_b64 v[4:5], v[16:17], off
	global_wb scope:SCOPE_SYS
	s_wait_storecnt 0x0
	s_wait_xcnt 0x0
	global_atomic_cmpswap_b64 v[14:15], v9, v[14:17], s[2:3] offset:24 th:TH_ATOMIC_RETURN scope:SCOPE_SYS
	s_wait_loadcnt 0x0
	v_cmp_ne_u64_e32 vcc_lo, v[14:15], v[16:17]
	s_and_b32 exec_lo, exec_lo, vcc_lo
	s_cbranch_execz .LBB8_560
; %bb.634:                              ;   in Loop: Header=BB8_561 Depth=1
	s_mov_b32 s12, 0
.LBB8_635:                              ;   Parent Loop BB8_561 Depth=1
                                        ; =>  This Inner Loop Header: Depth=2
	v_dual_mov_b32 v12, s0 :: v_dual_mov_b32 v13, s1
	s_sleep 1
	global_store_b64 v[4:5], v[14:15], off
	global_wb scope:SCOPE_SYS
	s_wait_storecnt 0x0
	s_wait_xcnt 0x0
	global_atomic_cmpswap_b64 v[12:13], v9, v[12:15], s[2:3] offset:24 th:TH_ATOMIC_RETURN scope:SCOPE_SYS
	s_wait_loadcnt 0x0
	v_cmp_eq_u64_e32 vcc_lo, v[12:13], v[14:15]
	v_mov_b64_e32 v[14:15], v[12:13]
	s_or_b32 s12, vcc_lo, s12
	s_delay_alu instid0(SALU_CYCLE_1)
	s_and_not1_b32 exec_lo, exec_lo, s12
	s_cbranch_execnz .LBB8_635
	s_branch .LBB8_560
.LBB8_636:
.LBB8_637:
	s_and_b32 vcc_lo, exec_lo, s19
	s_cbranch_vccz .LBB8_744
.LBB8_638:
	v_mov_b64_e32 v[10:11], 0x100000002
	s_wait_loadcnt 0x0
	v_dual_mov_b32 v9, 0 :: v_dual_bitop2_b32 v28, 2, v2 bitop3:0x40
	v_dual_mov_b32 v5, v3 :: v_dual_bitop2_b32 v4, -3, v2 bitop3:0x40
	s_mov_b64 s[4:5], 52
	s_branch .LBB8_640
.LBB8_639:                              ;   in Loop: Header=BB8_640 Depth=1
	s_or_b32 exec_lo, exec_lo, s12
	s_sub_nc_u64 s[4:5], s[4:5], s[8:9]
	s_add_nc_u64 s[6:7], s[6:7], s[8:9]
	s_cmp_lg_u64 s[4:5], 0
	s_cbranch_scc0 .LBB8_715
.LBB8_640:                              ; =>This Loop Header: Depth=1
                                        ;     Child Loop BB8_643 Depth 2
                                        ;     Child Loop BB8_650 Depth 2
                                        ;     Child Loop BB8_657 Depth 2
                                        ;     Child Loop BB8_664 Depth 2
                                        ;     Child Loop BB8_671 Depth 2
                                        ;     Child Loop BB8_678 Depth 2
                                        ;     Child Loop BB8_685 Depth 2
                                        ;     Child Loop BB8_692 Depth 2
                                        ;     Child Loop BB8_700 Depth 2
                                        ;     Child Loop BB8_709 Depth 2
                                        ;     Child Loop BB8_714 Depth 2
	v_min_u64 v[6:7], s[4:5], 56
	v_cmp_gt_u64_e64 s0, s[4:5], 7
	s_and_b32 vcc_lo, exec_lo, s0
	v_readfirstlane_b32 s8, v6
	v_readfirstlane_b32 s9, v7
	s_cbranch_vccnz .LBB8_645
; %bb.641:                              ;   in Loop: Header=BB8_640 Depth=1
	v_mov_b64_e32 v[6:7], 0
	s_cmp_eq_u64 s[4:5], 0
	s_cbranch_scc1 .LBB8_644
; %bb.642:                              ;   in Loop: Header=BB8_640 Depth=1
	s_mov_b64 s[0:1], 0
	s_mov_b64 s[10:11], 0
.LBB8_643:                              ;   Parent Loop BB8_640 Depth=1
                                        ; =>  This Inner Loop Header: Depth=2
	s_wait_xcnt 0x0
	s_add_nc_u64 s[12:13], s[6:7], s[10:11]
	s_add_nc_u64 s[10:11], s[10:11], 1
	global_load_u8 v1, v9, s[12:13]
	s_cmp_lg_u32 s8, s10
	s_wait_loadcnt 0x0
	v_and_b32_e32 v8, 0xffff, v1
	s_delay_alu instid0(VALU_DEP_1) | instskip(SKIP_1) | instid1(VALU_DEP_1)
	v_lshlrev_b64_e32 v[12:13], s0, v[8:9]
	s_add_nc_u64 s[0:1], s[0:1], 8
	v_or_b32_e32 v6, v12, v6
	s_delay_alu instid0(VALU_DEP_2)
	v_or_b32_e32 v7, v13, v7
	s_cbranch_scc1 .LBB8_643
.LBB8_644:                              ;   in Loop: Header=BB8_640 Depth=1
	s_mov_b64 s[10:11], s[6:7]
	s_mov_b32 s14, 0
	s_cbranch_execz .LBB8_646
	s_branch .LBB8_647
.LBB8_645:                              ;   in Loop: Header=BB8_640 Depth=1
	s_add_nc_u64 s[10:11], s[6:7], 8
	s_mov_b32 s14, 0
.LBB8_646:                              ;   in Loop: Header=BB8_640 Depth=1
	global_load_b64 v[6:7], v9, s[6:7]
	s_add_co_i32 s14, s8, -8
.LBB8_647:                              ;   in Loop: Header=BB8_640 Depth=1
	s_delay_alu instid0(SALU_CYCLE_1)
	s_cmp_gt_u32 s14, 7
	s_cbranch_scc1 .LBB8_652
; %bb.648:                              ;   in Loop: Header=BB8_640 Depth=1
	v_mov_b64_e32 v[12:13], 0
	s_cmp_eq_u32 s14, 0
	s_cbranch_scc1 .LBB8_651
; %bb.649:                              ;   in Loop: Header=BB8_640 Depth=1
	s_mov_b64 s[0:1], 0
	s_wait_xcnt 0x0
	s_mov_b64 s[12:13], 0
.LBB8_650:                              ;   Parent Loop BB8_640 Depth=1
                                        ; =>  This Inner Loop Header: Depth=2
	s_wait_xcnt 0x0
	s_add_nc_u64 s[16:17], s[10:11], s[12:13]
	s_add_nc_u64 s[12:13], s[12:13], 1
	global_load_u8 v1, v9, s[16:17]
	s_cmp_lg_u32 s14, s12
	s_wait_loadcnt 0x0
	v_and_b32_e32 v8, 0xffff, v1
	s_delay_alu instid0(VALU_DEP_1) | instskip(SKIP_1) | instid1(VALU_DEP_1)
	v_lshlrev_b64_e32 v[14:15], s0, v[8:9]
	s_add_nc_u64 s[0:1], s[0:1], 8
	v_or_b32_e32 v12, v14, v12
	s_delay_alu instid0(VALU_DEP_2)
	v_or_b32_e32 v13, v15, v13
	s_cbranch_scc1 .LBB8_650
.LBB8_651:                              ;   in Loop: Header=BB8_640 Depth=1
	s_wait_xcnt 0x0
	s_mov_b64 s[0:1], s[10:11]
	s_mov_b32 s15, 0
	s_cbranch_execz .LBB8_653
	s_branch .LBB8_654
.LBB8_652:                              ;   in Loop: Header=BB8_640 Depth=1
	s_add_nc_u64 s[0:1], s[10:11], 8
	s_wait_xcnt 0x0
                                        ; implicit-def: $vgpr12_vgpr13
	s_mov_b32 s15, 0
.LBB8_653:                              ;   in Loop: Header=BB8_640 Depth=1
	global_load_b64 v[12:13], v9, s[10:11]
	s_add_co_i32 s15, s14, -8
.LBB8_654:                              ;   in Loop: Header=BB8_640 Depth=1
	s_delay_alu instid0(SALU_CYCLE_1)
	s_cmp_gt_u32 s15, 7
	s_cbranch_scc1 .LBB8_659
; %bb.655:                              ;   in Loop: Header=BB8_640 Depth=1
	v_mov_b64_e32 v[14:15], 0
	s_cmp_eq_u32 s15, 0
	s_cbranch_scc1 .LBB8_658
; %bb.656:                              ;   in Loop: Header=BB8_640 Depth=1
	s_wait_xcnt 0x0
	s_mov_b64 s[10:11], 0
	s_mov_b64 s[12:13], 0
.LBB8_657:                              ;   Parent Loop BB8_640 Depth=1
                                        ; =>  This Inner Loop Header: Depth=2
	s_wait_xcnt 0x0
	s_add_nc_u64 s[16:17], s[0:1], s[12:13]
	s_add_nc_u64 s[12:13], s[12:13], 1
	global_load_u8 v1, v9, s[16:17]
	s_cmp_lg_u32 s15, s12
	s_wait_loadcnt 0x0
	v_and_b32_e32 v8, 0xffff, v1
	s_delay_alu instid0(VALU_DEP_1) | instskip(SKIP_1) | instid1(VALU_DEP_1)
	v_lshlrev_b64_e32 v[16:17], s10, v[8:9]
	s_add_nc_u64 s[10:11], s[10:11], 8
	v_or_b32_e32 v14, v16, v14
	s_delay_alu instid0(VALU_DEP_2)
	v_or_b32_e32 v15, v17, v15
	s_cbranch_scc1 .LBB8_657
.LBB8_658:                              ;   in Loop: Header=BB8_640 Depth=1
	s_wait_xcnt 0x0
	s_mov_b64 s[10:11], s[0:1]
	s_mov_b32 s14, 0
	s_cbranch_execz .LBB8_660
	s_branch .LBB8_661
.LBB8_659:                              ;   in Loop: Header=BB8_640 Depth=1
	s_wait_xcnt 0x0
	s_add_nc_u64 s[10:11], s[0:1], 8
	s_mov_b32 s14, 0
.LBB8_660:                              ;   in Loop: Header=BB8_640 Depth=1
	global_load_b64 v[14:15], v9, s[0:1]
	s_add_co_i32 s14, s15, -8
.LBB8_661:                              ;   in Loop: Header=BB8_640 Depth=1
	s_delay_alu instid0(SALU_CYCLE_1)
	s_cmp_gt_u32 s14, 7
	s_cbranch_scc1 .LBB8_666
; %bb.662:                              ;   in Loop: Header=BB8_640 Depth=1
	v_mov_b64_e32 v[16:17], 0
	s_cmp_eq_u32 s14, 0
	s_cbranch_scc1 .LBB8_665
; %bb.663:                              ;   in Loop: Header=BB8_640 Depth=1
	s_wait_xcnt 0x0
	s_mov_b64 s[0:1], 0
	s_mov_b64 s[12:13], 0
.LBB8_664:                              ;   Parent Loop BB8_640 Depth=1
                                        ; =>  This Inner Loop Header: Depth=2
	s_wait_xcnt 0x0
	s_add_nc_u64 s[16:17], s[10:11], s[12:13]
	s_add_nc_u64 s[12:13], s[12:13], 1
	global_load_u8 v1, v9, s[16:17]
	s_cmp_lg_u32 s14, s12
	s_wait_loadcnt 0x0
	v_and_b32_e32 v8, 0xffff, v1
	s_delay_alu instid0(VALU_DEP_1) | instskip(SKIP_1) | instid1(VALU_DEP_1)
	v_lshlrev_b64_e32 v[18:19], s0, v[8:9]
	s_add_nc_u64 s[0:1], s[0:1], 8
	v_or_b32_e32 v16, v18, v16
	s_delay_alu instid0(VALU_DEP_2)
	v_or_b32_e32 v17, v19, v17
	s_cbranch_scc1 .LBB8_664
.LBB8_665:                              ;   in Loop: Header=BB8_640 Depth=1
	s_wait_xcnt 0x0
	s_mov_b64 s[0:1], s[10:11]
	s_mov_b32 s15, 0
	s_cbranch_execz .LBB8_667
	s_branch .LBB8_668
.LBB8_666:                              ;   in Loop: Header=BB8_640 Depth=1
	s_wait_xcnt 0x0
	s_add_nc_u64 s[0:1], s[10:11], 8
                                        ; implicit-def: $vgpr16_vgpr17
	s_mov_b32 s15, 0
.LBB8_667:                              ;   in Loop: Header=BB8_640 Depth=1
	global_load_b64 v[16:17], v9, s[10:11]
	s_add_co_i32 s15, s14, -8
.LBB8_668:                              ;   in Loop: Header=BB8_640 Depth=1
	s_delay_alu instid0(SALU_CYCLE_1)
	s_cmp_gt_u32 s15, 7
	s_cbranch_scc1 .LBB8_673
; %bb.669:                              ;   in Loop: Header=BB8_640 Depth=1
	v_mov_b64_e32 v[18:19], 0
	s_cmp_eq_u32 s15, 0
	s_cbranch_scc1 .LBB8_672
; %bb.670:                              ;   in Loop: Header=BB8_640 Depth=1
	s_wait_xcnt 0x0
	s_mov_b64 s[10:11], 0
	s_mov_b64 s[12:13], 0
.LBB8_671:                              ;   Parent Loop BB8_640 Depth=1
                                        ; =>  This Inner Loop Header: Depth=2
	s_wait_xcnt 0x0
	s_add_nc_u64 s[16:17], s[0:1], s[12:13]
	s_add_nc_u64 s[12:13], s[12:13], 1
	global_load_u8 v1, v9, s[16:17]
	s_cmp_lg_u32 s15, s12
	s_wait_loadcnt 0x0
	v_and_b32_e32 v8, 0xffff, v1
	s_delay_alu instid0(VALU_DEP_1) | instskip(SKIP_1) | instid1(VALU_DEP_1)
	v_lshlrev_b64_e32 v[20:21], s10, v[8:9]
	s_add_nc_u64 s[10:11], s[10:11], 8
	v_or_b32_e32 v18, v20, v18
	s_delay_alu instid0(VALU_DEP_2)
	v_or_b32_e32 v19, v21, v19
	s_cbranch_scc1 .LBB8_671
.LBB8_672:                              ;   in Loop: Header=BB8_640 Depth=1
	s_wait_xcnt 0x0
	s_mov_b64 s[10:11], s[0:1]
	s_mov_b32 s14, 0
	s_cbranch_execz .LBB8_674
	s_branch .LBB8_675
.LBB8_673:                              ;   in Loop: Header=BB8_640 Depth=1
	s_wait_xcnt 0x0
	s_add_nc_u64 s[10:11], s[0:1], 8
	s_mov_b32 s14, 0
.LBB8_674:                              ;   in Loop: Header=BB8_640 Depth=1
	global_load_b64 v[18:19], v9, s[0:1]
	s_add_co_i32 s14, s15, -8
.LBB8_675:                              ;   in Loop: Header=BB8_640 Depth=1
	s_delay_alu instid0(SALU_CYCLE_1)
	s_cmp_gt_u32 s14, 7
	s_cbranch_scc1 .LBB8_680
; %bb.676:                              ;   in Loop: Header=BB8_640 Depth=1
	v_mov_b64_e32 v[20:21], 0
	s_cmp_eq_u32 s14, 0
	s_cbranch_scc1 .LBB8_679
; %bb.677:                              ;   in Loop: Header=BB8_640 Depth=1
	s_wait_xcnt 0x0
	s_mov_b64 s[0:1], 0
	s_mov_b64 s[12:13], 0
.LBB8_678:                              ;   Parent Loop BB8_640 Depth=1
                                        ; =>  This Inner Loop Header: Depth=2
	s_wait_xcnt 0x0
	s_add_nc_u64 s[16:17], s[10:11], s[12:13]
	s_add_nc_u64 s[12:13], s[12:13], 1
	global_load_u8 v1, v9, s[16:17]
	s_cmp_lg_u32 s14, s12
	s_wait_loadcnt 0x0
	v_and_b32_e32 v8, 0xffff, v1
	s_delay_alu instid0(VALU_DEP_1) | instskip(SKIP_1) | instid1(VALU_DEP_1)
	v_lshlrev_b64_e32 v[22:23], s0, v[8:9]
	s_add_nc_u64 s[0:1], s[0:1], 8
	v_or_b32_e32 v20, v22, v20
	s_delay_alu instid0(VALU_DEP_2)
	v_or_b32_e32 v21, v23, v21
	s_cbranch_scc1 .LBB8_678
.LBB8_679:                              ;   in Loop: Header=BB8_640 Depth=1
	s_wait_xcnt 0x0
	s_mov_b64 s[0:1], s[10:11]
	s_mov_b32 s15, 0
	s_cbranch_execz .LBB8_681
	s_branch .LBB8_682
.LBB8_680:                              ;   in Loop: Header=BB8_640 Depth=1
	s_wait_xcnt 0x0
	s_add_nc_u64 s[0:1], s[10:11], 8
                                        ; implicit-def: $vgpr20_vgpr21
	s_mov_b32 s15, 0
.LBB8_681:                              ;   in Loop: Header=BB8_640 Depth=1
	global_load_b64 v[20:21], v9, s[10:11]
	s_add_co_i32 s15, s14, -8
.LBB8_682:                              ;   in Loop: Header=BB8_640 Depth=1
	s_delay_alu instid0(SALU_CYCLE_1)
	s_cmp_gt_u32 s15, 7
	s_cbranch_scc1 .LBB8_687
; %bb.683:                              ;   in Loop: Header=BB8_640 Depth=1
	v_mov_b64_e32 v[22:23], 0
	s_cmp_eq_u32 s15, 0
	s_cbranch_scc1 .LBB8_686
; %bb.684:                              ;   in Loop: Header=BB8_640 Depth=1
	s_wait_xcnt 0x0
	s_mov_b64 s[10:11], 0
	s_mov_b64 s[12:13], s[0:1]
.LBB8_685:                              ;   Parent Loop BB8_640 Depth=1
                                        ; =>  This Inner Loop Header: Depth=2
	global_load_u8 v1, v9, s[12:13]
	s_add_co_i32 s15, s15, -1
	s_wait_xcnt 0x0
	s_add_nc_u64 s[12:13], s[12:13], 1
	s_cmp_lg_u32 s15, 0
	s_wait_loadcnt 0x0
	v_and_b32_e32 v8, 0xffff, v1
	s_delay_alu instid0(VALU_DEP_1) | instskip(SKIP_1) | instid1(VALU_DEP_1)
	v_lshlrev_b64_e32 v[24:25], s10, v[8:9]
	s_add_nc_u64 s[10:11], s[10:11], 8
	v_or_b32_e32 v22, v24, v22
	s_delay_alu instid0(VALU_DEP_2)
	v_or_b32_e32 v23, v25, v23
	s_cbranch_scc1 .LBB8_685
.LBB8_686:                              ;   in Loop: Header=BB8_640 Depth=1
	s_wait_xcnt 0x0
	s_cbranch_execz .LBB8_688
	s_branch .LBB8_689
.LBB8_687:                              ;   in Loop: Header=BB8_640 Depth=1
	s_wait_xcnt 0x0
.LBB8_688:                              ;   in Loop: Header=BB8_640 Depth=1
	global_load_b64 v[22:23], v9, s[0:1]
.LBB8_689:                              ;   in Loop: Header=BB8_640 Depth=1
	s_wait_xcnt 0x0
	v_readfirstlane_b32 s0, v29
	v_mov_b64_e32 v[30:31], 0
	s_delay_alu instid0(VALU_DEP_2)
	v_cmp_eq_u32_e64 s0, s0, v29
	s_and_saveexec_b32 s1, s0
	s_cbranch_execz .LBB8_695
; %bb.690:                              ;   in Loop: Header=BB8_640 Depth=1
	global_load_b64 v[26:27], v9, s[2:3] offset:24 scope:SCOPE_SYS
	s_wait_loadcnt 0x0
	global_inv scope:SCOPE_SYS
	s_clause 0x1
	global_load_b64 v[24:25], v9, s[2:3] offset:40
	global_load_b64 v[30:31], v9, s[2:3]
	s_mov_b32 s10, exec_lo
	s_wait_loadcnt 0x1
	v_and_b32_e32 v24, v24, v26
	v_and_b32_e32 v25, v25, v27
	s_delay_alu instid0(VALU_DEP_1) | instskip(SKIP_1) | instid1(VALU_DEP_1)
	v_mul_u64_e32 v[24:25], 24, v[24:25]
	s_wait_loadcnt 0x0
	v_add_nc_u64_e32 v[24:25], v[30:31], v[24:25]
	global_load_b64 v[24:25], v[24:25], off scope:SCOPE_SYS
	s_wait_xcnt 0x0
	s_wait_loadcnt 0x0
	global_atomic_cmpswap_b64 v[30:31], v9, v[24:27], s[2:3] offset:24 th:TH_ATOMIC_RETURN scope:SCOPE_SYS
	s_wait_loadcnt 0x0
	global_inv scope:SCOPE_SYS
	s_wait_xcnt 0x0
	v_cmpx_ne_u64_e64 v[30:31], v[26:27]
	s_cbranch_execz .LBB8_694
; %bb.691:                              ;   in Loop: Header=BB8_640 Depth=1
	s_mov_b32 s11, 0
.LBB8_692:                              ;   Parent Loop BB8_640 Depth=1
                                        ; =>  This Inner Loop Header: Depth=2
	s_sleep 1
	s_clause 0x1
	global_load_b64 v[24:25], v9, s[2:3] offset:40
	global_load_b64 v[32:33], v9, s[2:3]
	v_mov_b64_e32 v[26:27], v[30:31]
	s_wait_loadcnt 0x1
	s_delay_alu instid0(VALU_DEP_1) | instskip(SKIP_1) | instid1(VALU_DEP_1)
	v_and_b32_e32 v1, v24, v26
	s_wait_loadcnt 0x0
	v_mad_nc_u64_u32 v[30:31], v1, 24, v[32:33]
	s_delay_alu instid0(VALU_DEP_3) | instskip(NEXT) | instid1(VALU_DEP_1)
	v_and_b32_e32 v1, v25, v27
	v_mad_u32 v31, v1, 24, v31
	global_load_b64 v[24:25], v[30:31], off scope:SCOPE_SYS
	s_wait_xcnt 0x0
	s_wait_loadcnt 0x0
	global_atomic_cmpswap_b64 v[30:31], v9, v[24:27], s[2:3] offset:24 th:TH_ATOMIC_RETURN scope:SCOPE_SYS
	s_wait_loadcnt 0x0
	global_inv scope:SCOPE_SYS
	v_cmp_eq_u64_e32 vcc_lo, v[30:31], v[26:27]
	s_or_b32 s11, vcc_lo, s11
	s_wait_xcnt 0x0
	s_and_not1_b32 exec_lo, exec_lo, s11
	s_cbranch_execnz .LBB8_692
; %bb.693:                              ;   in Loop: Header=BB8_640 Depth=1
	s_or_b32 exec_lo, exec_lo, s11
.LBB8_694:                              ;   in Loop: Header=BB8_640 Depth=1
	s_delay_alu instid0(SALU_CYCLE_1)
	s_or_b32 exec_lo, exec_lo, s10
.LBB8_695:                              ;   in Loop: Header=BB8_640 Depth=1
	s_delay_alu instid0(SALU_CYCLE_1)
	s_or_b32 exec_lo, exec_lo, s1
	s_clause 0x1
	global_load_b64 v[32:33], v9, s[2:3] offset:40
	global_load_b128 v[24:27], v9, s[2:3]
	v_readfirstlane_b32 s10, v30
	v_readfirstlane_b32 s11, v31
	s_mov_b32 s1, exec_lo
	s_wait_loadcnt 0x1
	v_and_b32_e32 v32, s10, v32
	v_and_b32_e32 v33, s11, v33
	s_delay_alu instid0(VALU_DEP_1) | instskip(SKIP_1) | instid1(VALU_DEP_1)
	v_mul_u64_e32 v[30:31], 24, v[32:33]
	s_wait_loadcnt 0x0
	v_add_nc_u64_e32 v[30:31], v[24:25], v[30:31]
	s_wait_xcnt 0x0
	s_and_saveexec_b32 s12, s0
	s_cbranch_execz .LBB8_697
; %bb.696:                              ;   in Loop: Header=BB8_640 Depth=1
	v_mov_b32_e32 v8, s1
	global_store_b128 v[30:31], v[8:11], off offset:8
.LBB8_697:                              ;   in Loop: Header=BB8_640 Depth=1
	s_wait_xcnt 0x0
	s_or_b32 exec_lo, exec_lo, s12
	v_cmp_lt_u64_e64 vcc_lo, s[4:5], 57
	v_lshlrev_b64_e32 v[32:33], 12, v[32:33]
	v_and_b32_e32 v4, 0xffffff1f, v4
	s_lshl_b32 s1, s8, 2
	s_delay_alu instid0(SALU_CYCLE_1) | instskip(SKIP_1) | instid1(VALU_DEP_3)
	s_add_co_i32 s1, s1, 28
	v_cndmask_b32_e32 v1, 0, v28, vcc_lo
	v_add_nc_u64_e32 v[26:27], v[26:27], v[32:33]
	s_delay_alu instid0(VALU_DEP_2) | instskip(NEXT) | instid1(VALU_DEP_2)
	v_or_b32_e32 v1, v4, v1
	v_readfirstlane_b32 s12, v26
	s_delay_alu instid0(VALU_DEP_3) | instskip(NEXT) | instid1(VALU_DEP_3)
	v_readfirstlane_b32 s13, v27
	v_and_or_b32 v4, 0x1e0, s1, v1
	s_clause 0x3
	global_store_b128 v0, v[4:7], s[12:13]
	global_store_b128 v0, v[12:15], s[12:13] offset:16
	global_store_b128 v0, v[16:19], s[12:13] offset:32
	;; [unrolled: 1-line block ×3, first 2 shown]
	s_wait_xcnt 0x0
	s_and_saveexec_b32 s1, s0
	s_cbranch_execz .LBB8_705
; %bb.698:                              ;   in Loop: Header=BB8_640 Depth=1
	s_clause 0x1
	global_load_b64 v[16:17], v9, s[2:3] offset:32 scope:SCOPE_SYS
	global_load_b64 v[4:5], v9, s[2:3] offset:40
	s_mov_b32 s12, exec_lo
	v_dual_mov_b32 v14, s10 :: v_dual_mov_b32 v15, s11
	s_wait_loadcnt 0x0
	v_and_b32_e32 v5, s11, v5
	v_and_b32_e32 v4, s10, v4
	s_delay_alu instid0(VALU_DEP_1) | instskip(NEXT) | instid1(VALU_DEP_1)
	v_mul_u64_e32 v[4:5], 24, v[4:5]
	v_add_nc_u64_e32 v[12:13], v[24:25], v[4:5]
	global_store_b64 v[12:13], v[16:17], off
	global_wb scope:SCOPE_SYS
	s_wait_storecnt 0x0
	s_wait_xcnt 0x0
	global_atomic_cmpswap_b64 v[6:7], v9, v[14:17], s[2:3] offset:32 th:TH_ATOMIC_RETURN scope:SCOPE_SYS
	s_wait_loadcnt 0x0
	v_cmpx_ne_u64_e64 v[6:7], v[16:17]
	s_cbranch_execz .LBB8_701
; %bb.699:                              ;   in Loop: Header=BB8_640 Depth=1
	s_mov_b32 s13, 0
.LBB8_700:                              ;   Parent Loop BB8_640 Depth=1
                                        ; =>  This Inner Loop Header: Depth=2
	v_dual_mov_b32 v4, s10 :: v_dual_mov_b32 v5, s11
	s_sleep 1
	global_store_b64 v[12:13], v[6:7], off
	global_wb scope:SCOPE_SYS
	s_wait_storecnt 0x0
	s_wait_xcnt 0x0
	global_atomic_cmpswap_b64 v[4:5], v9, v[4:7], s[2:3] offset:32 th:TH_ATOMIC_RETURN scope:SCOPE_SYS
	s_wait_loadcnt 0x0
	v_cmp_eq_u64_e32 vcc_lo, v[4:5], v[6:7]
	v_mov_b64_e32 v[6:7], v[4:5]
	s_or_b32 s13, vcc_lo, s13
	s_delay_alu instid0(SALU_CYCLE_1)
	s_and_not1_b32 exec_lo, exec_lo, s13
	s_cbranch_execnz .LBB8_700
.LBB8_701:                              ;   in Loop: Header=BB8_640 Depth=1
	s_or_b32 exec_lo, exec_lo, s12
	global_load_b64 v[4:5], v9, s[2:3] offset:16
	s_mov_b32 s13, exec_lo
	s_mov_b32 s12, exec_lo
	v_mbcnt_lo_u32_b32 v1, s13, 0
	s_wait_xcnt 0x0
	s_delay_alu instid0(VALU_DEP_1)
	v_cmpx_eq_u32_e32 0, v1
	s_cbranch_execz .LBB8_703
; %bb.702:                              ;   in Loop: Header=BB8_640 Depth=1
	s_bcnt1_i32_b32 s13, s13
	s_delay_alu instid0(SALU_CYCLE_1)
	v_mov_b32_e32 v8, s13
	global_wb scope:SCOPE_SYS
	s_wait_loadcnt 0x0
	s_wait_storecnt 0x0
	global_atomic_add_u64 v[4:5], v[8:9], off offset:8 scope:SCOPE_SYS
.LBB8_703:                              ;   in Loop: Header=BB8_640 Depth=1
	s_wait_xcnt 0x0
	s_or_b32 exec_lo, exec_lo, s12
	s_wait_loadcnt 0x0
	global_load_b64 v[6:7], v[4:5], off offset:16
	s_wait_loadcnt 0x0
	v_cmp_eq_u64_e32 vcc_lo, 0, v[6:7]
	s_cbranch_vccnz .LBB8_705
; %bb.704:                              ;   in Loop: Header=BB8_640 Depth=1
	global_load_b32 v8, v[4:5], off offset:24
	s_wait_loadcnt 0x0
	v_readfirstlane_b32 s12, v8
	global_wb scope:SCOPE_SYS
	s_wait_storecnt 0x0
	s_wait_xcnt 0x0
	global_store_b64 v[6:7], v[8:9], off scope:SCOPE_SYS
	s_and_b32 m0, s12, 0xffffff
	s_sendmsg sendmsg(MSG_INTERRUPT)
.LBB8_705:                              ;   in Loop: Header=BB8_640 Depth=1
	s_wait_xcnt 0x0
	s_or_b32 exec_lo, exec_lo, s1
	v_mov_b32_e32 v1, v9
	s_delay_alu instid0(VALU_DEP_1)
	v_add_nc_u64_e32 v[4:5], v[26:27], v[0:1]
	s_branch .LBB8_709
.LBB8_706:                              ;   in Loop: Header=BB8_709 Depth=2
	s_wait_xcnt 0x0
	s_or_b32 exec_lo, exec_lo, s1
	s_delay_alu instid0(VALU_DEP_1)
	v_readfirstlane_b32 s1, v1
	s_cmp_eq_u32 s1, 0
	s_cbranch_scc1 .LBB8_708
; %bb.707:                              ;   in Loop: Header=BB8_709 Depth=2
	s_sleep 1
	s_cbranch_execnz .LBB8_709
	s_branch .LBB8_711
.LBB8_708:                              ;   in Loop: Header=BB8_640 Depth=1
	s_branch .LBB8_711
.LBB8_709:                              ;   Parent Loop BB8_640 Depth=1
                                        ; =>  This Inner Loop Header: Depth=2
	v_mov_b32_e32 v1, 1
	s_and_saveexec_b32 s1, s0
	s_cbranch_execz .LBB8_706
; %bb.710:                              ;   in Loop: Header=BB8_709 Depth=2
	global_load_b32 v1, v[30:31], off offset:20 scope:SCOPE_SYS
	s_wait_loadcnt 0x0
	global_inv scope:SCOPE_SYS
	v_and_b32_e32 v1, 1, v1
	s_branch .LBB8_706
.LBB8_711:                              ;   in Loop: Header=BB8_640 Depth=1
	global_load_b64 v[4:5], v[4:5], off
	s_wait_xcnt 0x0
	s_and_saveexec_b32 s12, s0
	s_cbranch_execz .LBB8_639
; %bb.712:                              ;   in Loop: Header=BB8_640 Depth=1
	s_clause 0x2
	global_load_b64 v[6:7], v9, s[2:3] offset:40
	global_load_b64 v[16:17], v9, s[2:3] offset:24 scope:SCOPE_SYS
	global_load_b64 v[12:13], v9, s[2:3]
	s_wait_loadcnt 0x2
	v_readfirstlane_b32 s14, v6
	v_readfirstlane_b32 s15, v7
	s_add_nc_u64 s[0:1], s[14:15], 1
	s_delay_alu instid0(SALU_CYCLE_1) | instskip(NEXT) | instid1(SALU_CYCLE_1)
	s_add_nc_u64 s[10:11], s[0:1], s[10:11]
	s_cmp_eq_u64 s[10:11], 0
	s_cselect_b32 s1, s1, s11
	s_cselect_b32 s0, s0, s10
	s_delay_alu instid0(SALU_CYCLE_1) | instskip(SKIP_1) | instid1(SALU_CYCLE_1)
	v_dual_mov_b32 v15, s1 :: v_dual_mov_b32 v14, s0
	s_and_b64 s[10:11], s[0:1], s[14:15]
	s_mul_u64 s[10:11], s[10:11], 24
	s_wait_loadcnt 0x0
	v_add_nc_u64_e32 v[6:7], s[10:11], v[12:13]
	global_store_b64 v[6:7], v[16:17], off
	global_wb scope:SCOPE_SYS
	s_wait_storecnt 0x0
	s_wait_xcnt 0x0
	global_atomic_cmpswap_b64 v[14:15], v9, v[14:17], s[2:3] offset:24 th:TH_ATOMIC_RETURN scope:SCOPE_SYS
	s_wait_loadcnt 0x0
	v_cmp_ne_u64_e32 vcc_lo, v[14:15], v[16:17]
	s_and_b32 exec_lo, exec_lo, vcc_lo
	s_cbranch_execz .LBB8_639
; %bb.713:                              ;   in Loop: Header=BB8_640 Depth=1
	s_mov_b32 s10, 0
.LBB8_714:                              ;   Parent Loop BB8_640 Depth=1
                                        ; =>  This Inner Loop Header: Depth=2
	v_dual_mov_b32 v12, s0 :: v_dual_mov_b32 v13, s1
	s_sleep 1
	global_store_b64 v[6:7], v[14:15], off
	global_wb scope:SCOPE_SYS
	s_wait_storecnt 0x0
	s_wait_xcnt 0x0
	global_atomic_cmpswap_b64 v[12:13], v9, v[12:15], s[2:3] offset:24 th:TH_ATOMIC_RETURN scope:SCOPE_SYS
	s_wait_loadcnt 0x0
	v_cmp_eq_u64_e32 vcc_lo, v[12:13], v[14:15]
	v_mov_b64_e32 v[14:15], v[12:13]
	s_or_b32 s10, vcc_lo, s10
	s_delay_alu instid0(SALU_CYCLE_1)
	s_and_not1_b32 exec_lo, exec_lo, s10
	s_cbranch_execnz .LBB8_714
	s_branch .LBB8_639
.LBB8_715:
	s_branch .LBB8_772
.LBB8_716:
                                        ; implicit-def: $vgpr2_vgpr3
	s_cbranch_execz .LBB8_637
; %bb.717:
	v_readfirstlane_b32 s0, v29
	v_mov_b64_e32 v[8:9], 0
	s_delay_alu instid0(VALU_DEP_2)
	v_cmp_eq_u32_e64 s0, s0, v29
	s_and_saveexec_b32 s1, s0
	s_cbranch_execz .LBB8_723
; %bb.718:
	v_mov_b32_e32 v1, 0
	s_mov_b32 s4, exec_lo
	global_load_b64 v[4:5], v1, s[2:3] offset:24 scope:SCOPE_SYS
	s_wait_loadcnt 0x0
	global_inv scope:SCOPE_SYS
	s_clause 0x1
	global_load_b64 v[2:3], v1, s[2:3] offset:40
	global_load_b64 v[8:9], v1, s[2:3]
	s_wait_loadcnt 0x1
	v_and_b32_e32 v2, v2, v4
	v_and_b32_e32 v3, v3, v5
	s_delay_alu instid0(VALU_DEP_1) | instskip(SKIP_1) | instid1(VALU_DEP_1)
	v_mul_u64_e32 v[2:3], 24, v[2:3]
	s_wait_loadcnt 0x0
	v_add_nc_u64_e32 v[2:3], v[8:9], v[2:3]
	global_load_b64 v[2:3], v[2:3], off scope:SCOPE_SYS
	s_wait_xcnt 0x0
	s_wait_loadcnt 0x0
	global_atomic_cmpswap_b64 v[8:9], v1, v[2:5], s[2:3] offset:24 th:TH_ATOMIC_RETURN scope:SCOPE_SYS
	s_wait_loadcnt 0x0
	global_inv scope:SCOPE_SYS
	s_wait_xcnt 0x0
	v_cmpx_ne_u64_e64 v[8:9], v[4:5]
	s_cbranch_execz .LBB8_722
; %bb.719:
	s_mov_b32 s5, 0
.LBB8_720:                              ; =>This Inner Loop Header: Depth=1
	s_sleep 1
	s_clause 0x1
	global_load_b64 v[2:3], v1, s[2:3] offset:40
	global_load_b64 v[10:11], v1, s[2:3]
	v_mov_b64_e32 v[4:5], v[8:9]
	s_wait_loadcnt 0x1
	s_delay_alu instid0(VALU_DEP_1) | instskip(SKIP_1) | instid1(VALU_DEP_1)
	v_and_b32_e32 v2, v2, v4
	s_wait_loadcnt 0x0
	v_mad_nc_u64_u32 v[8:9], v2, 24, v[10:11]
	s_delay_alu instid0(VALU_DEP_3) | instskip(NEXT) | instid1(VALU_DEP_1)
	v_and_b32_e32 v2, v3, v5
	v_mad_u32 v9, v2, 24, v9
	global_load_b64 v[2:3], v[8:9], off scope:SCOPE_SYS
	s_wait_xcnt 0x0
	s_wait_loadcnt 0x0
	global_atomic_cmpswap_b64 v[8:9], v1, v[2:5], s[2:3] offset:24 th:TH_ATOMIC_RETURN scope:SCOPE_SYS
	s_wait_loadcnt 0x0
	global_inv scope:SCOPE_SYS
	v_cmp_eq_u64_e32 vcc_lo, v[8:9], v[4:5]
	s_or_b32 s5, vcc_lo, s5
	s_wait_xcnt 0x0
	s_and_not1_b32 exec_lo, exec_lo, s5
	s_cbranch_execnz .LBB8_720
; %bb.721:
	s_or_b32 exec_lo, exec_lo, s5
.LBB8_722:
	s_delay_alu instid0(SALU_CYCLE_1)
	s_or_b32 exec_lo, exec_lo, s4
.LBB8_723:
	s_delay_alu instid0(SALU_CYCLE_1)
	s_or_b32 exec_lo, exec_lo, s1
	v_readfirstlane_b32 s4, v8
	v_mov_b32_e32 v1, 0
	v_readfirstlane_b32 s5, v9
	s_mov_b32 s1, exec_lo
	global_load_b64 v[10:11], v1, s[2:3] offset:40
	s_wait_loadcnt 0x1
	global_load_b128 v[2:5], v1, s[2:3]
	s_wait_loadcnt 0x1
	v_and_b32_e32 v8, s4, v10
	v_and_b32_e32 v9, s5, v11
	s_delay_alu instid0(VALU_DEP_1) | instskip(SKIP_1) | instid1(VALU_DEP_1)
	v_mul_u64_e32 v[10:11], 24, v[8:9]
	s_wait_loadcnt 0x0
	v_add_nc_u64_e32 v[10:11], v[2:3], v[10:11]
	s_wait_xcnt 0x0
	s_and_saveexec_b32 s8, s0
	s_cbranch_execz .LBB8_725
; %bb.724:
	v_mov_b64_e32 v[14:15], 0x100000002
	v_dual_mov_b32 v12, s1 :: v_dual_mov_b32 v13, v1
	global_store_b128 v[10:11], v[12:15], off offset:8
.LBB8_725:
	s_wait_xcnt 0x0
	s_or_b32 exec_lo, exec_lo, s8
	v_lshlrev_b64_e32 v[8:9], 12, v[8:9]
	s_mov_b32 s8, 0
	v_and_or_b32 v6, 0xffffff1f, v6, 32
	s_mov_b32 s10, s8
	s_mov_b32 s11, s8
	;; [unrolled: 1-line block ×3, first 2 shown]
	v_mov_b64_e32 v[16:17], s[10:11]
	v_add_nc_u64_e32 v[12:13], v[4:5], v[8:9]
	v_mov_b64_e32 v[14:15], s[8:9]
	v_dual_mov_b32 v8, v1 :: v_dual_mov_b32 v9, v1
	s_delay_alu instid0(VALU_DEP_3) | instskip(NEXT) | instid1(VALU_DEP_4)
	v_readfirstlane_b32 s12, v12
	v_readfirstlane_b32 s13, v13
	s_clause 0x3
	global_store_b128 v0, v[6:9], s[12:13]
	global_store_b128 v0, v[14:17], s[12:13] offset:16
	global_store_b128 v0, v[14:17], s[12:13] offset:32
	global_store_b128 v0, v[14:17], s[12:13] offset:48
	s_wait_xcnt 0x0
	s_and_saveexec_b32 s1, s0
	s_cbranch_execz .LBB8_733
; %bb.726:
	v_dual_mov_b32 v8, 0 :: v_dual_mov_b32 v15, s5
	s_mov_b32 s8, exec_lo
	s_clause 0x1
	global_load_b64 v[16:17], v8, s[2:3] offset:32 scope:SCOPE_SYS
	global_load_b64 v[4:5], v8, s[2:3] offset:40
	s_wait_loadcnt 0x0
	v_dual_mov_b32 v14, s4 :: v_dual_bitop2_b32 v5, s5, v5 bitop3:0x40
	v_and_b32_e32 v4, s4, v4
	s_delay_alu instid0(VALU_DEP_1) | instskip(NEXT) | instid1(VALU_DEP_1)
	v_mul_u64_e32 v[4:5], 24, v[4:5]
	v_add_nc_u64_e32 v[6:7], v[2:3], v[4:5]
	global_store_b64 v[6:7], v[16:17], off
	global_wb scope:SCOPE_SYS
	s_wait_storecnt 0x0
	s_wait_xcnt 0x0
	global_atomic_cmpswap_b64 v[4:5], v8, v[14:17], s[2:3] offset:32 th:TH_ATOMIC_RETURN scope:SCOPE_SYS
	s_wait_loadcnt 0x0
	v_cmpx_ne_u64_e64 v[4:5], v[16:17]
	s_cbranch_execz .LBB8_729
; %bb.727:
	s_mov_b32 s9, 0
.LBB8_728:                              ; =>This Inner Loop Header: Depth=1
	v_dual_mov_b32 v2, s4 :: v_dual_mov_b32 v3, s5
	s_sleep 1
	global_store_b64 v[6:7], v[4:5], off
	global_wb scope:SCOPE_SYS
	s_wait_storecnt 0x0
	s_wait_xcnt 0x0
	global_atomic_cmpswap_b64 v[2:3], v8, v[2:5], s[2:3] offset:32 th:TH_ATOMIC_RETURN scope:SCOPE_SYS
	s_wait_loadcnt 0x0
	v_cmp_eq_u64_e32 vcc_lo, v[2:3], v[4:5]
	v_mov_b64_e32 v[4:5], v[2:3]
	s_or_b32 s9, vcc_lo, s9
	s_delay_alu instid0(SALU_CYCLE_1)
	s_and_not1_b32 exec_lo, exec_lo, s9
	s_cbranch_execnz .LBB8_728
.LBB8_729:
	s_or_b32 exec_lo, exec_lo, s8
	v_mov_b32_e32 v5, 0
	s_mov_b32 s9, exec_lo
	s_mov_b32 s8, exec_lo
	v_mbcnt_lo_u32_b32 v4, s9, 0
	global_load_b64 v[2:3], v5, s[2:3] offset:16
	s_wait_xcnt 0x0
	v_cmpx_eq_u32_e32 0, v4
	s_cbranch_execz .LBB8_731
; %bb.730:
	s_bcnt1_i32_b32 s9, s9
	s_delay_alu instid0(SALU_CYCLE_1)
	v_mov_b32_e32 v4, s9
	global_wb scope:SCOPE_SYS
	s_wait_loadcnt 0x0
	s_wait_storecnt 0x0
	global_atomic_add_u64 v[2:3], v[4:5], off offset:8 scope:SCOPE_SYS
.LBB8_731:
	s_wait_xcnt 0x0
	s_or_b32 exec_lo, exec_lo, s8
	s_wait_loadcnt 0x0
	global_load_b64 v[4:5], v[2:3], off offset:16
	s_wait_loadcnt 0x0
	v_cmp_eq_u64_e32 vcc_lo, 0, v[4:5]
	s_cbranch_vccnz .LBB8_733
; %bb.732:
	global_load_b32 v2, v[2:3], off offset:24
	s_wait_xcnt 0x0
	v_mov_b32_e32 v3, 0
	s_wait_loadcnt 0x0
	v_readfirstlane_b32 s8, v2
	global_wb scope:SCOPE_SYS
	s_wait_storecnt 0x0
	global_store_b64 v[4:5], v[2:3], off scope:SCOPE_SYS
	s_and_b32 m0, s8, 0xffffff
	s_sendmsg sendmsg(MSG_INTERRUPT)
.LBB8_733:
	s_wait_xcnt 0x0
	s_or_b32 exec_lo, exec_lo, s1
	v_add_nc_u64_e32 v[2:3], v[12:13], v[0:1]
	s_branch .LBB8_737
.LBB8_734:                              ;   in Loop: Header=BB8_737 Depth=1
	s_wait_xcnt 0x0
	s_or_b32 exec_lo, exec_lo, s1
	s_delay_alu instid0(VALU_DEP_1)
	v_readfirstlane_b32 s1, v1
	s_cmp_eq_u32 s1, 0
	s_cbranch_scc1 .LBB8_736
; %bb.735:                              ;   in Loop: Header=BB8_737 Depth=1
	s_sleep 1
	s_cbranch_execnz .LBB8_737
	s_branch .LBB8_739
.LBB8_736:
	s_branch .LBB8_739
.LBB8_737:                              ; =>This Inner Loop Header: Depth=1
	v_mov_b32_e32 v1, 1
	s_and_saveexec_b32 s1, s0
	s_cbranch_execz .LBB8_734
; %bb.738:                              ;   in Loop: Header=BB8_737 Depth=1
	global_load_b32 v1, v[10:11], off offset:20 scope:SCOPE_SYS
	s_wait_loadcnt 0x0
	global_inv scope:SCOPE_SYS
	v_and_b32_e32 v1, 1, v1
	s_branch .LBB8_734
.LBB8_739:
	global_load_b64 v[2:3], v[2:3], off
	s_wait_xcnt 0x0
	s_and_saveexec_b32 s8, s0
	s_cbranch_execz .LBB8_743
; %bb.740:
	v_mov_b32_e32 v1, 0
	s_clause 0x2
	global_load_b64 v[4:5], v1, s[2:3] offset:40
	global_load_b64 v[12:13], v1, s[2:3] offset:24 scope:SCOPE_SYS
	global_load_b64 v[6:7], v1, s[2:3]
	s_wait_loadcnt 0x2
	v_readfirstlane_b32 s10, v4
	v_readfirstlane_b32 s11, v5
	s_add_nc_u64 s[0:1], s[10:11], 1
	s_delay_alu instid0(SALU_CYCLE_1) | instskip(NEXT) | instid1(SALU_CYCLE_1)
	s_add_nc_u64 s[4:5], s[0:1], s[4:5]
	s_cmp_eq_u64 s[4:5], 0
	s_cselect_b32 s1, s1, s5
	s_cselect_b32 s0, s0, s4
	v_mov_b32_e32 v11, s1
	s_and_b64 s[4:5], s[0:1], s[10:11]
	v_mov_b32_e32 v10, s0
	s_mul_u64 s[4:5], s[4:5], 24
	s_wait_loadcnt 0x0
	v_add_nc_u64_e32 v[8:9], s[4:5], v[6:7]
	global_store_b64 v[8:9], v[12:13], off
	global_wb scope:SCOPE_SYS
	s_wait_storecnt 0x0
	s_wait_xcnt 0x0
	global_atomic_cmpswap_b64 v[6:7], v1, v[10:13], s[2:3] offset:24 th:TH_ATOMIC_RETURN scope:SCOPE_SYS
	s_wait_loadcnt 0x0
	v_cmp_ne_u64_e32 vcc_lo, v[6:7], v[12:13]
	s_and_b32 exec_lo, exec_lo, vcc_lo
	s_cbranch_execz .LBB8_743
; %bb.741:
	s_mov_b32 s4, 0
.LBB8_742:                              ; =>This Inner Loop Header: Depth=1
	v_dual_mov_b32 v4, s0 :: v_dual_mov_b32 v5, s1
	s_sleep 1
	global_store_b64 v[8:9], v[6:7], off
	global_wb scope:SCOPE_SYS
	s_wait_storecnt 0x0
	s_wait_xcnt 0x0
	global_atomic_cmpswap_b64 v[4:5], v1, v[4:7], s[2:3] offset:24 th:TH_ATOMIC_RETURN scope:SCOPE_SYS
	s_wait_loadcnt 0x0
	v_cmp_eq_u64_e32 vcc_lo, v[4:5], v[6:7]
	v_mov_b64_e32 v[6:7], v[4:5]
	s_or_b32 s4, vcc_lo, s4
	s_delay_alu instid0(SALU_CYCLE_1)
	s_and_not1_b32 exec_lo, exec_lo, s4
	s_cbranch_execnz .LBB8_742
.LBB8_743:
	s_or_b32 exec_lo, exec_lo, s8
	s_delay_alu instid0(SALU_CYCLE_1)
	s_and_b32 vcc_lo, exec_lo, s19
	s_cbranch_vccnz .LBB8_638
.LBB8_744:
                                        ; implicit-def: $vgpr4_vgpr5
	s_cbranch_execz .LBB8_772
; %bb.745:
	v_readfirstlane_b32 s0, v29
	s_wait_loadcnt 0x0
	v_mov_b64_e32 v[4:5], 0
	s_delay_alu instid0(VALU_DEP_2)
	v_cmp_eq_u32_e64 s0, s0, v29
	s_and_saveexec_b32 s1, s0
	s_cbranch_execz .LBB8_751
; %bb.746:
	v_mov_b32_e32 v1, 0
	s_mov_b32 s4, exec_lo
	global_load_b64 v[6:7], v1, s[2:3] offset:24 scope:SCOPE_SYS
	s_wait_loadcnt 0x0
	global_inv scope:SCOPE_SYS
	s_clause 0x1
	global_load_b64 v[4:5], v1, s[2:3] offset:40
	global_load_b64 v[8:9], v1, s[2:3]
	s_wait_loadcnt 0x1
	v_and_b32_e32 v4, v4, v6
	v_and_b32_e32 v5, v5, v7
	s_delay_alu instid0(VALU_DEP_1) | instskip(SKIP_1) | instid1(VALU_DEP_1)
	v_mul_u64_e32 v[4:5], 24, v[4:5]
	s_wait_loadcnt 0x0
	v_add_nc_u64_e32 v[4:5], v[8:9], v[4:5]
	global_load_b64 v[4:5], v[4:5], off scope:SCOPE_SYS
	s_wait_xcnt 0x0
	s_wait_loadcnt 0x0
	global_atomic_cmpswap_b64 v[4:5], v1, v[4:7], s[2:3] offset:24 th:TH_ATOMIC_RETURN scope:SCOPE_SYS
	s_wait_loadcnt 0x0
	global_inv scope:SCOPE_SYS
	s_wait_xcnt 0x0
	v_cmpx_ne_u64_e64 v[4:5], v[6:7]
	s_cbranch_execz .LBB8_750
; %bb.747:
	s_mov_b32 s5, 0
.LBB8_748:                              ; =>This Inner Loop Header: Depth=1
	s_sleep 1
	s_clause 0x1
	global_load_b64 v[8:9], v1, s[2:3] offset:40
	global_load_b64 v[10:11], v1, s[2:3]
	v_mov_b64_e32 v[6:7], v[4:5]
	s_wait_loadcnt 0x1
	s_delay_alu instid0(VALU_DEP_1) | instskip(NEXT) | instid1(VALU_DEP_2)
	v_and_b32_e32 v4, v8, v6
	v_and_b32_e32 v8, v9, v7
	s_wait_loadcnt 0x0
	s_delay_alu instid0(VALU_DEP_2) | instskip(NEXT) | instid1(VALU_DEP_1)
	v_mad_nc_u64_u32 v[4:5], v4, 24, v[10:11]
	v_mad_u32 v5, v8, 24, v5
	global_load_b64 v[4:5], v[4:5], off scope:SCOPE_SYS
	s_wait_xcnt 0x0
	s_wait_loadcnt 0x0
	global_atomic_cmpswap_b64 v[4:5], v1, v[4:7], s[2:3] offset:24 th:TH_ATOMIC_RETURN scope:SCOPE_SYS
	s_wait_loadcnt 0x0
	global_inv scope:SCOPE_SYS
	v_cmp_eq_u64_e32 vcc_lo, v[4:5], v[6:7]
	s_or_b32 s5, vcc_lo, s5
	s_wait_xcnt 0x0
	s_and_not1_b32 exec_lo, exec_lo, s5
	s_cbranch_execnz .LBB8_748
; %bb.749:
	s_or_b32 exec_lo, exec_lo, s5
.LBB8_750:
	s_delay_alu instid0(SALU_CYCLE_1)
	s_or_b32 exec_lo, exec_lo, s4
.LBB8_751:
	s_delay_alu instid0(SALU_CYCLE_1)
	s_or_b32 exec_lo, exec_lo, s1
	v_readfirstlane_b32 s4, v4
	v_mov_b32_e32 v1, 0
	v_readfirstlane_b32 s5, v5
	s_mov_b32 s1, exec_lo
	s_clause 0x1
	global_load_b64 v[10:11], v1, s[2:3] offset:40
	global_load_b128 v[6:9], v1, s[2:3]
	s_wait_loadcnt 0x1
	v_and_b32_e32 v4, s4, v10
	v_and_b32_e32 v5, s5, v11
	s_delay_alu instid0(VALU_DEP_1) | instskip(SKIP_1) | instid1(VALU_DEP_1)
	v_mul_u64_e32 v[10:11], 24, v[4:5]
	s_wait_loadcnt 0x0
	v_add_nc_u64_e32 v[10:11], v[6:7], v[10:11]
	s_wait_xcnt 0x0
	s_and_saveexec_b32 s6, s0
	s_cbranch_execz .LBB8_753
; %bb.752:
	v_mov_b64_e32 v[14:15], 0x100000002
	v_dual_mov_b32 v12, s1 :: v_dual_mov_b32 v13, v1
	global_store_b128 v[10:11], v[12:15], off offset:8
.LBB8_753:
	s_wait_xcnt 0x0
	s_or_b32 exec_lo, exec_lo, s6
	v_lshlrev_b64_e32 v[4:5], 12, v[4:5]
	s_mov_b32 s8, 0
	v_and_or_b32 v2, 0xffffff1f, v2, 32
	s_mov_b32 s10, s8
	s_mov_b32 s11, s8
	;; [unrolled: 1-line block ×3, first 2 shown]
	v_mov_b64_e32 v[14:15], s[10:11]
	v_add_nc_u64_e32 v[8:9], v[8:9], v[4:5]
	v_mov_b64_e32 v[12:13], s[8:9]
	v_dual_mov_b32 v4, v1 :: v_dual_mov_b32 v5, v1
	s_delay_alu instid0(VALU_DEP_3) | instskip(NEXT) | instid1(VALU_DEP_4)
	v_readfirstlane_b32 s6, v8
	v_readfirstlane_b32 s7, v9
	s_clause 0x3
	global_store_b128 v0, v[2:5], s[6:7]
	global_store_b128 v0, v[12:15], s[6:7] offset:16
	global_store_b128 v0, v[12:15], s[6:7] offset:32
	;; [unrolled: 1-line block ×3, first 2 shown]
	s_wait_xcnt 0x0
	s_and_saveexec_b32 s1, s0
	s_cbranch_execz .LBB8_761
; %bb.754:
	v_dual_mov_b32 v12, 0 :: v_dual_mov_b32 v15, s5
	s_mov_b32 s6, exec_lo
	s_clause 0x1
	global_load_b64 v[16:17], v12, s[2:3] offset:32 scope:SCOPE_SYS
	global_load_b64 v[2:3], v12, s[2:3] offset:40
	s_wait_loadcnt 0x0
	v_dual_mov_b32 v14, s4 :: v_dual_bitop2_b32 v3, s5, v3 bitop3:0x40
	v_and_b32_e32 v2, s4, v2
	s_delay_alu instid0(VALU_DEP_1) | instskip(NEXT) | instid1(VALU_DEP_1)
	v_mul_u64_e32 v[2:3], 24, v[2:3]
	v_add_nc_u64_e32 v[6:7], v[6:7], v[2:3]
	global_store_b64 v[6:7], v[16:17], off
	global_wb scope:SCOPE_SYS
	s_wait_storecnt 0x0
	s_wait_xcnt 0x0
	global_atomic_cmpswap_b64 v[4:5], v12, v[14:17], s[2:3] offset:32 th:TH_ATOMIC_RETURN scope:SCOPE_SYS
	s_wait_loadcnt 0x0
	v_cmpx_ne_u64_e64 v[4:5], v[16:17]
	s_cbranch_execz .LBB8_757
; %bb.755:
	s_mov_b32 s7, 0
.LBB8_756:                              ; =>This Inner Loop Header: Depth=1
	v_dual_mov_b32 v2, s4 :: v_dual_mov_b32 v3, s5
	s_sleep 1
	global_store_b64 v[6:7], v[4:5], off
	global_wb scope:SCOPE_SYS
	s_wait_storecnt 0x0
	s_wait_xcnt 0x0
	global_atomic_cmpswap_b64 v[2:3], v12, v[2:5], s[2:3] offset:32 th:TH_ATOMIC_RETURN scope:SCOPE_SYS
	s_wait_loadcnt 0x0
	v_cmp_eq_u64_e32 vcc_lo, v[2:3], v[4:5]
	v_mov_b64_e32 v[4:5], v[2:3]
	s_or_b32 s7, vcc_lo, s7
	s_delay_alu instid0(SALU_CYCLE_1)
	s_and_not1_b32 exec_lo, exec_lo, s7
	s_cbranch_execnz .LBB8_756
.LBB8_757:
	s_or_b32 exec_lo, exec_lo, s6
	v_mov_b32_e32 v5, 0
	s_mov_b32 s7, exec_lo
	s_mov_b32 s6, exec_lo
	v_mbcnt_lo_u32_b32 v4, s7, 0
	global_load_b64 v[2:3], v5, s[2:3] offset:16
	s_wait_xcnt 0x0
	v_cmpx_eq_u32_e32 0, v4
	s_cbranch_execz .LBB8_759
; %bb.758:
	s_bcnt1_i32_b32 s7, s7
	s_delay_alu instid0(SALU_CYCLE_1)
	v_mov_b32_e32 v4, s7
	global_wb scope:SCOPE_SYS
	s_wait_loadcnt 0x0
	s_wait_storecnt 0x0
	global_atomic_add_u64 v[2:3], v[4:5], off offset:8 scope:SCOPE_SYS
.LBB8_759:
	s_wait_xcnt 0x0
	s_or_b32 exec_lo, exec_lo, s6
	s_wait_loadcnt 0x0
	global_load_b64 v[4:5], v[2:3], off offset:16
	s_wait_loadcnt 0x0
	v_cmp_eq_u64_e32 vcc_lo, 0, v[4:5]
	s_cbranch_vccnz .LBB8_761
; %bb.760:
	global_load_b32 v2, v[2:3], off offset:24
	s_wait_xcnt 0x0
	v_mov_b32_e32 v3, 0
	s_wait_loadcnt 0x0
	v_readfirstlane_b32 s6, v2
	global_wb scope:SCOPE_SYS
	s_wait_storecnt 0x0
	global_store_b64 v[4:5], v[2:3], off scope:SCOPE_SYS
	s_and_b32 m0, s6, 0xffffff
	s_sendmsg sendmsg(MSG_INTERRUPT)
.LBB8_761:
	s_wait_xcnt 0x0
	s_or_b32 exec_lo, exec_lo, s1
	v_add_nc_u64_e32 v[2:3], v[8:9], v[0:1]
	s_branch .LBB8_765
.LBB8_762:                              ;   in Loop: Header=BB8_765 Depth=1
	s_wait_xcnt 0x0
	s_or_b32 exec_lo, exec_lo, s1
	s_delay_alu instid0(VALU_DEP_1)
	v_readfirstlane_b32 s1, v1
	s_cmp_eq_u32 s1, 0
	s_cbranch_scc1 .LBB8_764
; %bb.763:                              ;   in Loop: Header=BB8_765 Depth=1
	s_sleep 1
	s_cbranch_execnz .LBB8_765
	s_branch .LBB8_767
.LBB8_764:
	s_branch .LBB8_767
.LBB8_765:                              ; =>This Inner Loop Header: Depth=1
	v_mov_b32_e32 v1, 1
	s_and_saveexec_b32 s1, s0
	s_cbranch_execz .LBB8_762
; %bb.766:                              ;   in Loop: Header=BB8_765 Depth=1
	global_load_b32 v1, v[10:11], off offset:20 scope:SCOPE_SYS
	s_wait_loadcnt 0x0
	global_inv scope:SCOPE_SYS
	v_and_b32_e32 v1, 1, v1
	s_branch .LBB8_762
.LBB8_767:
	global_load_b64 v[4:5], v[2:3], off
	s_wait_xcnt 0x0
	s_and_saveexec_b32 s6, s0
	s_cbranch_execz .LBB8_771
; %bb.768:
	v_mov_b32_e32 v1, 0
	s_clause 0x2
	global_load_b64 v[2:3], v1, s[2:3] offset:40
	global_load_b64 v[10:11], v1, s[2:3] offset:24 scope:SCOPE_SYS
	global_load_b64 v[6:7], v1, s[2:3]
	s_wait_loadcnt 0x2
	v_readfirstlane_b32 s8, v2
	v_readfirstlane_b32 s9, v3
	s_add_nc_u64 s[0:1], s[8:9], 1
	s_delay_alu instid0(SALU_CYCLE_1) | instskip(NEXT) | instid1(SALU_CYCLE_1)
	s_add_nc_u64 s[4:5], s[0:1], s[4:5]
	s_cmp_eq_u64 s[4:5], 0
	s_cselect_b32 s1, s1, s5
	s_cselect_b32 s0, s0, s4
	v_mov_b32_e32 v9, s1
	s_and_b64 s[4:5], s[0:1], s[8:9]
	v_mov_b32_e32 v8, s0
	s_mul_u64 s[4:5], s[4:5], 24
	s_wait_loadcnt 0x0
	v_add_nc_u64_e32 v[2:3], s[4:5], v[6:7]
	global_store_b64 v[2:3], v[10:11], off
	global_wb scope:SCOPE_SYS
	s_wait_storecnt 0x0
	s_wait_xcnt 0x0
	global_atomic_cmpswap_b64 v[8:9], v1, v[8:11], s[2:3] offset:24 th:TH_ATOMIC_RETURN scope:SCOPE_SYS
	s_wait_loadcnt 0x0
	v_cmp_ne_u64_e32 vcc_lo, v[8:9], v[10:11]
	s_and_b32 exec_lo, exec_lo, vcc_lo
	s_cbranch_execz .LBB8_771
; %bb.769:
	s_mov_b32 s4, 0
.LBB8_770:                              ; =>This Inner Loop Header: Depth=1
	v_dual_mov_b32 v6, s0 :: v_dual_mov_b32 v7, s1
	s_sleep 1
	global_store_b64 v[2:3], v[8:9], off
	global_wb scope:SCOPE_SYS
	s_wait_storecnt 0x0
	s_wait_xcnt 0x0
	global_atomic_cmpswap_b64 v[6:7], v1, v[6:9], s[2:3] offset:24 th:TH_ATOMIC_RETURN scope:SCOPE_SYS
	s_wait_loadcnt 0x0
	v_cmp_eq_u64_e32 vcc_lo, v[6:7], v[8:9]
	v_mov_b64_e32 v[8:9], v[6:7]
	s_or_b32 s4, vcc_lo, s4
	s_delay_alu instid0(SALU_CYCLE_1)
	s_and_not1_b32 exec_lo, exec_lo, s4
	s_cbranch_execnz .LBB8_770
.LBB8_771:
	s_or_b32 exec_lo, exec_lo, s6
.LBB8_772:
	v_readfirstlane_b32 s0, v29
	s_wait_loadcnt 0x0
	v_mov_b64_e32 v[2:3], 0
	s_delay_alu instid0(VALU_DEP_2)
	v_cmp_eq_u32_e64 s0, s0, v29
	s_and_saveexec_b32 s1, s0
	s_cbranch_execz .LBB8_778
; %bb.773:
	v_mov_b32_e32 v1, 0
	s_mov_b32 s4, exec_lo
	global_load_b64 v[8:9], v1, s[2:3] offset:24 scope:SCOPE_SYS
	s_wait_loadcnt 0x0
	global_inv scope:SCOPE_SYS
	s_clause 0x1
	global_load_b64 v[2:3], v1, s[2:3] offset:40
	global_load_b64 v[6:7], v1, s[2:3]
	s_wait_loadcnt 0x1
	v_and_b32_e32 v2, v2, v8
	v_and_b32_e32 v3, v3, v9
	s_delay_alu instid0(VALU_DEP_1) | instskip(SKIP_1) | instid1(VALU_DEP_1)
	v_mul_u64_e32 v[2:3], 24, v[2:3]
	s_wait_loadcnt 0x0
	v_add_nc_u64_e32 v[2:3], v[6:7], v[2:3]
	global_load_b64 v[6:7], v[2:3], off scope:SCOPE_SYS
	s_wait_xcnt 0x0
	s_wait_loadcnt 0x0
	global_atomic_cmpswap_b64 v[2:3], v1, v[6:9], s[2:3] offset:24 th:TH_ATOMIC_RETURN scope:SCOPE_SYS
	s_wait_loadcnt 0x0
	global_inv scope:SCOPE_SYS
	s_wait_xcnt 0x0
	v_cmpx_ne_u64_e64 v[2:3], v[8:9]
	s_cbranch_execz .LBB8_777
; %bb.774:
	s_mov_b32 s5, 0
.LBB8_775:                              ; =>This Inner Loop Header: Depth=1
	s_sleep 1
	s_clause 0x1
	global_load_b64 v[6:7], v1, s[2:3] offset:40
	global_load_b64 v[10:11], v1, s[2:3]
	v_mov_b64_e32 v[8:9], v[2:3]
	s_wait_loadcnt 0x1
	s_delay_alu instid0(VALU_DEP_1) | instskip(NEXT) | instid1(VALU_DEP_2)
	v_and_b32_e32 v2, v6, v8
	v_and_b32_e32 v6, v7, v9
	s_wait_loadcnt 0x0
	s_delay_alu instid0(VALU_DEP_2) | instskip(NEXT) | instid1(VALU_DEP_1)
	v_mad_nc_u64_u32 v[2:3], v2, 24, v[10:11]
	v_mad_u32 v3, v6, 24, v3
	global_load_b64 v[6:7], v[2:3], off scope:SCOPE_SYS
	s_wait_xcnt 0x0
	s_wait_loadcnt 0x0
	global_atomic_cmpswap_b64 v[2:3], v1, v[6:9], s[2:3] offset:24 th:TH_ATOMIC_RETURN scope:SCOPE_SYS
	s_wait_loadcnt 0x0
	global_inv scope:SCOPE_SYS
	v_cmp_eq_u64_e32 vcc_lo, v[2:3], v[8:9]
	s_or_b32 s5, vcc_lo, s5
	s_wait_xcnt 0x0
	s_and_not1_b32 exec_lo, exec_lo, s5
	s_cbranch_execnz .LBB8_775
; %bb.776:
	s_or_b32 exec_lo, exec_lo, s5
.LBB8_777:
	s_delay_alu instid0(SALU_CYCLE_1)
	s_or_b32 exec_lo, exec_lo, s4
.LBB8_778:
	s_delay_alu instid0(SALU_CYCLE_1)
	s_or_b32 exec_lo, exec_lo, s1
	v_readfirstlane_b32 s4, v2
	v_mov_b32_e32 v7, 0
	v_readfirstlane_b32 s5, v3
	s_mov_b32 s1, exec_lo
	s_clause 0x1
	global_load_b64 v[12:13], v7, s[2:3] offset:40
	global_load_b128 v[8:11], v7, s[2:3]
	s_wait_loadcnt 0x1
	v_and_b32_e32 v2, s4, v12
	v_and_b32_e32 v3, s5, v13
	s_delay_alu instid0(VALU_DEP_1) | instskip(SKIP_1) | instid1(VALU_DEP_1)
	v_mul_u64_e32 v[12:13], 24, v[2:3]
	s_wait_loadcnt 0x0
	v_add_nc_u64_e32 v[12:13], v[8:9], v[12:13]
	s_wait_xcnt 0x0
	s_and_saveexec_b32 s6, s0
	s_cbranch_execz .LBB8_780
; %bb.779:
	v_mov_b32_e32 v6, s1
	v_mov_b64_e32 v[16:17], 0x100000002
	s_delay_alu instid0(VALU_DEP_2)
	v_mov_b64_e32 v[14:15], v[6:7]
	global_store_b128 v[12:13], v[14:17], off offset:8
.LBB8_780:
	s_wait_xcnt 0x0
	s_or_b32 exec_lo, exec_lo, s6
	v_lshlrev_b64_e32 v[2:3], 12, v[2:3]
	s_mov_b32 s8, 0
	v_and_or_b32 v4, 0xffffff1d, v4, 34
	s_mov_b32 s10, s8
	s_mov_b32 s11, s8
	s_mov_b32 s9, s8
	v_mov_b64_e32 v[16:17], s[10:11]
	v_add_nc_u64_e32 v[2:3], v[10:11], v[2:3]
	v_mov_b64_e32 v[14:15], s[8:9]
	v_mov_b32_e32 v6, 2
	s_delay_alu instid0(VALU_DEP_3) | instskip(NEXT) | instid1(VALU_DEP_4)
	v_readfirstlane_b32 s6, v2
	v_readfirstlane_b32 s7, v3
	s_clause 0x3
	global_store_b128 v0, v[4:7], s[6:7]
	global_store_b128 v0, v[14:17], s[6:7] offset:16
	global_store_b128 v0, v[14:17], s[6:7] offset:32
	;; [unrolled: 1-line block ×3, first 2 shown]
	s_wait_xcnt 0x0
	s_and_saveexec_b32 s1, s0
	s_cbranch_execz .LBB8_788
; %bb.781:
	v_mov_b32_e32 v6, 0
	s_mov_b32 s6, exec_lo
	s_clause 0x1
	global_load_b64 v[10:11], v6, s[2:3] offset:32 scope:SCOPE_SYS
	global_load_b64 v[0:1], v6, s[2:3] offset:40
	s_wait_loadcnt 0x0
	v_and_b32_e32 v0, s4, v0
	v_and_b32_e32 v1, s5, v1
	s_delay_alu instid0(VALU_DEP_1) | instskip(NEXT) | instid1(VALU_DEP_1)
	v_mul_u64_e32 v[0:1], 24, v[0:1]
	v_add_nc_u64_e32 v[4:5], v[8:9], v[0:1]
	v_dual_mov_b32 v8, s4 :: v_dual_mov_b32 v9, s5
	global_store_b64 v[4:5], v[10:11], off
	global_wb scope:SCOPE_SYS
	s_wait_storecnt 0x0
	s_wait_xcnt 0x0
	global_atomic_cmpswap_b64 v[2:3], v6, v[8:11], s[2:3] offset:32 th:TH_ATOMIC_RETURN scope:SCOPE_SYS
	s_wait_loadcnt 0x0
	v_cmpx_ne_u64_e64 v[2:3], v[10:11]
	s_cbranch_execz .LBB8_784
; %bb.782:
	s_mov_b32 s7, 0
.LBB8_783:                              ; =>This Inner Loop Header: Depth=1
	v_dual_mov_b32 v0, s4 :: v_dual_mov_b32 v1, s5
	s_sleep 1
	global_store_b64 v[4:5], v[2:3], off
	global_wb scope:SCOPE_SYS
	s_wait_storecnt 0x0
	s_wait_xcnt 0x0
	global_atomic_cmpswap_b64 v[0:1], v6, v[0:3], s[2:3] offset:32 th:TH_ATOMIC_RETURN scope:SCOPE_SYS
	s_wait_loadcnt 0x0
	v_cmp_eq_u64_e32 vcc_lo, v[0:1], v[2:3]
	v_mov_b64_e32 v[2:3], v[0:1]
	s_or_b32 s7, vcc_lo, s7
	s_delay_alu instid0(SALU_CYCLE_1)
	s_and_not1_b32 exec_lo, exec_lo, s7
	s_cbranch_execnz .LBB8_783
.LBB8_784:
	s_or_b32 exec_lo, exec_lo, s6
	v_mov_b32_e32 v3, 0
	s_mov_b32 s7, exec_lo
	s_mov_b32 s6, exec_lo
	v_mbcnt_lo_u32_b32 v2, s7, 0
	global_load_b64 v[0:1], v3, s[2:3] offset:16
	s_wait_xcnt 0x0
	v_cmpx_eq_u32_e32 0, v2
	s_cbranch_execz .LBB8_786
; %bb.785:
	s_bcnt1_i32_b32 s7, s7
	s_delay_alu instid0(SALU_CYCLE_1)
	v_mov_b32_e32 v2, s7
	global_wb scope:SCOPE_SYS
	s_wait_loadcnt 0x0
	s_wait_storecnt 0x0
	global_atomic_add_u64 v[0:1], v[2:3], off offset:8 scope:SCOPE_SYS
.LBB8_786:
	s_wait_xcnt 0x0
	s_or_b32 exec_lo, exec_lo, s6
	s_wait_loadcnt 0x0
	global_load_b64 v[2:3], v[0:1], off offset:16
	s_wait_loadcnt 0x0
	v_cmp_eq_u64_e32 vcc_lo, 0, v[2:3]
	s_cbranch_vccnz .LBB8_788
; %bb.787:
	global_load_b32 v0, v[0:1], off offset:24
	s_wait_xcnt 0x0
	v_mov_b32_e32 v1, 0
	s_wait_loadcnt 0x0
	v_readfirstlane_b32 s6, v0
	global_wb scope:SCOPE_SYS
	s_wait_storecnt 0x0
	global_store_b64 v[2:3], v[0:1], off scope:SCOPE_SYS
	s_and_b32 m0, s6, 0xffffff
	s_sendmsg sendmsg(MSG_INTERRUPT)
.LBB8_788:
	s_wait_xcnt 0x0
	s_or_b32 exec_lo, exec_lo, s1
	s_branch .LBB8_792
.LBB8_789:                              ;   in Loop: Header=BB8_792 Depth=1
	s_wait_xcnt 0x0
	s_or_b32 exec_lo, exec_lo, s1
	s_delay_alu instid0(VALU_DEP_1)
	v_readfirstlane_b32 s1, v0
	s_cmp_eq_u32 s1, 0
	s_cbranch_scc1 .LBB8_791
; %bb.790:                              ;   in Loop: Header=BB8_792 Depth=1
	s_sleep 1
	s_cbranch_execnz .LBB8_792
	s_branch .LBB8_794
.LBB8_791:
	s_branch .LBB8_794
.LBB8_792:                              ; =>This Inner Loop Header: Depth=1
	v_mov_b32_e32 v0, 1
	s_and_saveexec_b32 s1, s0
	s_cbranch_execz .LBB8_789
; %bb.793:                              ;   in Loop: Header=BB8_792 Depth=1
	global_load_b32 v0, v[12:13], off offset:20 scope:SCOPE_SYS
	s_wait_loadcnt 0x0
	global_inv scope:SCOPE_SYS
	v_and_b32_e32 v0, 1, v0
	s_branch .LBB8_789
.LBB8_794:
	s_and_saveexec_b32 s1, s0
	s_cbranch_execz .LBB8_798
; %bb.795:
	v_mov_b32_e32 v6, 0
	s_clause 0x2
	global_load_b64 v[0:1], v6, s[2:3] offset:40
	global_load_b64 v[10:11], v6, s[2:3] offset:24 scope:SCOPE_SYS
	global_load_b64 v[2:3], v6, s[2:3]
	s_wait_loadcnt 0x2
	v_readfirstlane_b32 s6, v0
	v_readfirstlane_b32 s7, v1
	s_add_nc_u64 s[0:1], s[6:7], 1
	s_delay_alu instid0(SALU_CYCLE_1) | instskip(NEXT) | instid1(SALU_CYCLE_1)
	s_add_nc_u64 s[4:5], s[0:1], s[4:5]
	s_cmp_eq_u64 s[4:5], 0
	s_cselect_b32 s1, s1, s5
	s_cselect_b32 s0, s0, s4
	v_mov_b32_e32 v9, s1
	s_and_b64 s[4:5], s[0:1], s[6:7]
	v_mov_b32_e32 v8, s0
	s_mul_u64 s[4:5], s[4:5], 24
	s_wait_loadcnt 0x0
	v_add_nc_u64_e32 v[4:5], s[4:5], v[2:3]
	global_store_b64 v[4:5], v[10:11], off
	global_wb scope:SCOPE_SYS
	s_wait_storecnt 0x0
	s_wait_xcnt 0x0
	global_atomic_cmpswap_b64 v[2:3], v6, v[8:11], s[2:3] offset:24 th:TH_ATOMIC_RETURN scope:SCOPE_SYS
	s_wait_loadcnt 0x0
	v_cmp_ne_u64_e32 vcc_lo, v[2:3], v[10:11]
	s_and_b32 exec_lo, exec_lo, vcc_lo
	s_cbranch_execz .LBB8_798
; %bb.796:
	s_mov_b32 s4, 0
.LBB8_797:                              ; =>This Inner Loop Header: Depth=1
	v_dual_mov_b32 v0, s0 :: v_dual_mov_b32 v1, s1
	s_sleep 1
	global_store_b64 v[4:5], v[2:3], off
	global_wb scope:SCOPE_SYS
	s_wait_storecnt 0x0
	s_wait_xcnt 0x0
	global_atomic_cmpswap_b64 v[0:1], v6, v[0:3], s[2:3] offset:24 th:TH_ATOMIC_RETURN scope:SCOPE_SYS
	s_wait_loadcnt 0x0
	v_cmp_eq_u64_e32 vcc_lo, v[0:1], v[2:3]
	v_mov_b64_e32 v[2:3], v[0:1]
	s_or_b32 s4, vcc_lo, s4
	s_delay_alu instid0(SALU_CYCLE_1)
	s_and_not1_b32 exec_lo, exec_lo, s4
	s_cbranch_execnz .LBB8_797
.LBB8_798:
	s_endpgm
	.section	.rodata,"a",@progbits
	.p2align	6, 0x0
	.amdhsa_kernel _ZN19hipPrintfStressTest26kernel_synchronized_printfEv
		.amdhsa_group_segment_fixed_size 0
		.amdhsa_private_segment_fixed_size 0
		.amdhsa_kernarg_size 256
		.amdhsa_user_sgpr_count 2
		.amdhsa_user_sgpr_dispatch_ptr 0
		.amdhsa_user_sgpr_queue_ptr 0
		.amdhsa_user_sgpr_kernarg_segment_ptr 1
		.amdhsa_user_sgpr_dispatch_id 0
		.amdhsa_user_sgpr_kernarg_preload_length 0
		.amdhsa_user_sgpr_kernarg_preload_offset 0
		.amdhsa_user_sgpr_private_segment_size 0
		.amdhsa_wavefront_size32 1
		.amdhsa_uses_dynamic_stack 0
		.amdhsa_enable_private_segment 0
		.amdhsa_system_sgpr_workgroup_id_x 1
		.amdhsa_system_sgpr_workgroup_id_y 0
		.amdhsa_system_sgpr_workgroup_id_z 0
		.amdhsa_system_sgpr_workgroup_info 0
		.amdhsa_system_vgpr_workitem_id 0
		.amdhsa_next_free_vgpr 34
		.amdhsa_next_free_sgpr 24
		.amdhsa_named_barrier_count 0
		.amdhsa_reserve_vcc 1
		.amdhsa_float_round_mode_32 0
		.amdhsa_float_round_mode_16_64 0
		.amdhsa_float_denorm_mode_32 3
		.amdhsa_float_denorm_mode_16_64 3
		.amdhsa_fp16_overflow 0
		.amdhsa_memory_ordered 1
		.amdhsa_forward_progress 1
		.amdhsa_inst_pref_size 251
		.amdhsa_round_robin_scheduling 0
		.amdhsa_exception_fp_ieee_invalid_op 0
		.amdhsa_exception_fp_denorm_src 0
		.amdhsa_exception_fp_ieee_div_zero 0
		.amdhsa_exception_fp_ieee_overflow 0
		.amdhsa_exception_fp_ieee_underflow 0
		.amdhsa_exception_fp_ieee_inexact 0
		.amdhsa_exception_int_div_zero 0
	.end_amdhsa_kernel
	.text
.Lfunc_end8:
	.size	_ZN19hipPrintfStressTest26kernel_synchronized_printfEv, .Lfunc_end8-_ZN19hipPrintfStressTest26kernel_synchronized_printfEv
                                        ; -- End function
	.set _ZN19hipPrintfStressTest26kernel_synchronized_printfEv.num_vgpr, 34
	.set _ZN19hipPrintfStressTest26kernel_synchronized_printfEv.num_agpr, 0
	.set _ZN19hipPrintfStressTest26kernel_synchronized_printfEv.numbered_sgpr, 24
	.set _ZN19hipPrintfStressTest26kernel_synchronized_printfEv.num_named_barrier, 0
	.set _ZN19hipPrintfStressTest26kernel_synchronized_printfEv.private_seg_size, 0
	.set _ZN19hipPrintfStressTest26kernel_synchronized_printfEv.uses_vcc, 1
	.set _ZN19hipPrintfStressTest26kernel_synchronized_printfEv.uses_flat_scratch, 0
	.set _ZN19hipPrintfStressTest26kernel_synchronized_printfEv.has_dyn_sized_stack, 0
	.set _ZN19hipPrintfStressTest26kernel_synchronized_printfEv.has_recursion, 0
	.set _ZN19hipPrintfStressTest26kernel_synchronized_printfEv.has_indirect_call, 0
	.section	.AMDGPU.csdata,"",@progbits
; Kernel info:
; codeLenInByte = 32116
; TotalNumSgprs: 26
; NumVgprs: 34
; ScratchSize: 0
; MemoryBound: 0
; FloatMode: 240
; IeeeMode: 1
; LDSByteSize: 0 bytes/workgroup (compile time only)
; SGPRBlocks: 0
; VGPRBlocks: 2
; NumSGPRsForWavesPerEU: 26
; NumVGPRsForWavesPerEU: 34
; NamedBarCnt: 0
; Occupancy: 16
; WaveLimiterHint : 1
; COMPUTE_PGM_RSRC2:SCRATCH_EN: 0
; COMPUTE_PGM_RSRC2:USER_SGPR: 2
; COMPUTE_PGM_RSRC2:TRAP_HANDLER: 0
; COMPUTE_PGM_RSRC2:TGID_X_EN: 1
; COMPUTE_PGM_RSRC2:TGID_Y_EN: 0
; COMPUTE_PGM_RSRC2:TGID_Z_EN: 0
; COMPUTE_PGM_RSRC2:TIDIG_COMP_CNT: 0
	.text
	.p2alignl 7, 3214868480
	.fill 96, 4, 3214868480
	.section	.AMDGPU.gpr_maximums,"",@progbits
	.set amdgpu.max_num_vgpr, 0
	.set amdgpu.max_num_agpr, 0
	.set amdgpu.max_num_sgpr, 0
	.text
	.type	.str,@object                    ; @.str
	.section	.rodata.str1.1,"aMS",@progbits,1
.str:
	.asciz	"%s"
	.size	.str, 3

	.type	.str.1,@object                  ; @.str.1
.str.1:
	.asciz	"Hello World from Device.Iam printing 55 bytes of data.\n"
	.size	.str.1, 56

	.type	.str.2,@object                  ; @.str.2
.str.2:
	.asciz	"Hello World from Device.Iam printing from even thread.\n"
	.size	.str.2, 56

	.type	.str.3,@object                  ; @.str.3
.str.3:
	.asciz	"Hello World from Device.This is odd thread.\n"
	.size	.str.3, 45

	.type	.str.4,@object                  ; @.str.4
.str.4:
	.asciz	"Hello World from Device.Iam printing (threadID,number)="
	.size	.str.4, 56

	.type	.str.5,@object                  ; @.str.5
.str.5:
	.asciz	"%s%u,%d\n"
	.size	.str.5, 9

	.type	.str.6,@object                  ; @.str.6
.str.6:
	.asciz	"Hello World from Device.Iam printing number="
	.size	.str.6, 45

	.type	.str.7,@object                  ; @.str.7
.str.7:
	.asciz	"%s%u\n"
	.size	.str.7, 6

	.type	.str.8,@object                  ; @.str.8
.str.8:
	.asciz	"Hello World from Device.Iam printing decimal number="
	.size	.str.8, 53

	.type	.str.9,@object                  ; @.str.9
.str.9:
	.asciz	"%s%.*f %.*e\n"
	.size	.str.9, 13

	.type	.str.10,@object                 ; @.str.10
.str.10:
	.asciz	"Hello World from Device. The sum of all threadID = "
	.size	.str.10, 52

	.type	__hip_cuid_dcf9ce6f42d92780,@object ; @__hip_cuid_dcf9ce6f42d92780
	.section	.bss,"aw",@nobits
	.globl	__hip_cuid_dcf9ce6f42d92780
__hip_cuid_dcf9ce6f42d92780:
	.byte	0                               ; 0x0
	.size	__hip_cuid_dcf9ce6f42d92780, 1

	.ident	"AMD clang version 22.0.0git (https://github.com/RadeonOpenCompute/llvm-project roc-7.2.4 26084 f58b06dce1f9c15707c5f808fd002e18c2accf7e)"
	.section	".note.GNU-stack","",@progbits
	.addrsig
	.addrsig_sym __hip_cuid_dcf9ce6f42d92780
	.amdgpu_metadata
---
amdhsa.kernels:
  - .args:
      - .offset:         0
        .size:           4
        .value_kind:     by_value
      - .offset:         8
        .size:           4
        .value_kind:     hidden_block_count_x
      - .offset:         12
        .size:           4
        .value_kind:     hidden_block_count_y
      - .offset:         16
        .size:           4
        .value_kind:     hidden_block_count_z
      - .offset:         20
        .size:           2
        .value_kind:     hidden_group_size_x
      - .offset:         22
        .size:           2
        .value_kind:     hidden_group_size_y
      - .offset:         24
        .size:           2
        .value_kind:     hidden_group_size_z
      - .offset:         26
        .size:           2
        .value_kind:     hidden_remainder_x
      - .offset:         28
        .size:           2
        .value_kind:     hidden_remainder_y
      - .offset:         30
        .size:           2
        .value_kind:     hidden_remainder_z
      - .offset:         48
        .size:           8
        .value_kind:     hidden_global_offset_x
      - .offset:         56
        .size:           8
        .value_kind:     hidden_global_offset_y
      - .offset:         64
        .size:           8
        .value_kind:     hidden_global_offset_z
      - .offset:         72
        .size:           2
        .value_kind:     hidden_grid_dims
      - .offset:         88
        .size:           8
        .value_kind:     hidden_hostcall_buffer
    .group_segment_fixed_size: 0
    .kernarg_segment_align: 8
    .kernarg_segment_size: 264
    .language:       OpenCL C
    .language_version:
      - 2
      - 0
    .max_flat_workgroup_size: 1024
    .name:           _ZN19hipPrintfStressTest22kernel_printf_conststrEj
    .private_segment_fixed_size: 0
    .sgpr_count:     32
    .sgpr_spill_count: 0
    .symbol:         _ZN19hipPrintfStressTest22kernel_printf_conststrEj.kd
    .uniform_work_group_size: 1
    .uses_dynamic_stack: false
    .vgpr_count:     46
    .vgpr_spill_count: 0
    .wavefront_size: 32
  - .args:
      - .offset:         0
        .size:           4
        .value_kind:     by_value
      - .offset:         8
        .size:           4
        .value_kind:     hidden_block_count_x
      - .offset:         12
        .size:           4
        .value_kind:     hidden_block_count_y
      - .offset:         16
        .size:           4
        .value_kind:     hidden_block_count_z
      - .offset:         20
        .size:           2
        .value_kind:     hidden_group_size_x
      - .offset:         22
        .size:           2
        .value_kind:     hidden_group_size_y
      - .offset:         24
        .size:           2
        .value_kind:     hidden_group_size_z
      - .offset:         26
        .size:           2
        .value_kind:     hidden_remainder_x
      - .offset:         28
        .size:           2
        .value_kind:     hidden_remainder_y
      - .offset:         30
        .size:           2
        .value_kind:     hidden_remainder_z
      - .offset:         48
        .size:           8
        .value_kind:     hidden_global_offset_x
      - .offset:         56
        .size:           8
        .value_kind:     hidden_global_offset_y
      - .offset:         64
        .size:           8
        .value_kind:     hidden_global_offset_z
      - .offset:         72
        .size:           2
        .value_kind:     hidden_grid_dims
      - .offset:         88
        .size:           8
        .value_kind:     hidden_hostcall_buffer
    .group_segment_fixed_size: 0
    .kernarg_segment_align: 8
    .kernarg_segment_size: 264
    .language:       OpenCL C
    .language_version:
      - 2
      - 0
    .max_flat_workgroup_size: 1024
    .name:           _ZN19hipPrintfStressTest32kernel_printf_two_conditionalstrEj
    .private_segment_fixed_size: 0
    .sgpr_count:     38
    .sgpr_spill_count: 0
    .symbol:         _ZN19hipPrintfStressTest32kernel_printf_two_conditionalstrEj.kd
    .uniform_work_group_size: 1
    .uses_dynamic_stack: false
    .vgpr_count:     46
    .vgpr_spill_count: 0
    .wavefront_size: 32
  - .args:
      - .offset:         0
        .size:           4
        .value_kind:     by_value
      - .offset:         8
        .size:           4
        .value_kind:     hidden_block_count_x
      - .offset:         12
        .size:           4
        .value_kind:     hidden_block_count_y
      - .offset:         16
        .size:           4
        .value_kind:     hidden_block_count_z
      - .offset:         20
        .size:           2
        .value_kind:     hidden_group_size_x
      - .offset:         22
        .size:           2
        .value_kind:     hidden_group_size_y
      - .offset:         24
        .size:           2
        .value_kind:     hidden_group_size_z
      - .offset:         26
        .size:           2
        .value_kind:     hidden_remainder_x
      - .offset:         28
        .size:           2
        .value_kind:     hidden_remainder_y
      - .offset:         30
        .size:           2
        .value_kind:     hidden_remainder_z
      - .offset:         48
        .size:           8
        .value_kind:     hidden_global_offset_x
      - .offset:         56
        .size:           8
        .value_kind:     hidden_global_offset_y
      - .offset:         64
        .size:           8
        .value_kind:     hidden_global_offset_z
      - .offset:         72
        .size:           2
        .value_kind:     hidden_grid_dims
      - .offset:         88
        .size:           8
        .value_kind:     hidden_hostcall_buffer
    .group_segment_fixed_size: 0
    .kernarg_segment_align: 8
    .kernarg_segment_size: 264
    .language:       OpenCL C
    .language_version:
      - 2
      - 0
    .max_flat_workgroup_size: 1024
    .name:           _ZN19hipPrintfStressTest35kernel_printf_single_conditionalstrEj
    .private_segment_fixed_size: 0
    .sgpr_count:     32
    .sgpr_spill_count: 0
    .symbol:         _ZN19hipPrintfStressTest35kernel_printf_single_conditionalstrEj.kd
    .uniform_work_group_size: 1
    .uses_dynamic_stack: false
    .vgpr_count:     46
    .vgpr_spill_count: 0
    .wavefront_size: 32
  - .args:
      - .offset:         0
        .size:           4
        .value_kind:     by_value
      - .address_space:  global
        .offset:         8
        .size:           8
        .value_kind:     global_buffer
      - .offset:         16
        .size:           4
        .value_kind:     hidden_block_count_x
      - .offset:         20
        .size:           4
        .value_kind:     hidden_block_count_y
      - .offset:         24
        .size:           4
        .value_kind:     hidden_block_count_z
      - .offset:         28
        .size:           2
        .value_kind:     hidden_group_size_x
      - .offset:         30
        .size:           2
        .value_kind:     hidden_group_size_y
      - .offset:         32
        .size:           2
        .value_kind:     hidden_group_size_z
      - .offset:         34
        .size:           2
        .value_kind:     hidden_remainder_x
      - .offset:         36
        .size:           2
        .value_kind:     hidden_remainder_y
      - .offset:         38
        .size:           2
        .value_kind:     hidden_remainder_z
      - .offset:         56
        .size:           8
        .value_kind:     hidden_global_offset_x
      - .offset:         64
        .size:           8
        .value_kind:     hidden_global_offset_y
      - .offset:         72
        .size:           8
        .value_kind:     hidden_global_offset_z
      - .offset:         80
        .size:           2
        .value_kind:     hidden_grid_dims
      - .offset:         96
        .size:           8
        .value_kind:     hidden_hostcall_buffer
    .group_segment_fixed_size: 0
    .kernarg_segment_align: 8
    .kernarg_segment_size: 272
    .language:       OpenCL C
    .language_version:
      - 2
      - 0
    .max_flat_workgroup_size: 1024
    .name:           _ZN19hipPrintfStressTest25kernel_printf_variablestrEjPi
    .private_segment_fixed_size: 0
    .sgpr_count:     34
    .sgpr_spill_count: 0
    .symbol:         _ZN19hipPrintfStressTest25kernel_printf_variablestrEjPi.kd
    .uniform_work_group_size: 1
    .uses_dynamic_stack: false
    .vgpr_count:     56
    .vgpr_spill_count: 0
    .wavefront_size: 32
  - .args:
      - .offset:         0
        .size:           4
        .value_kind:     by_value
      - .address_space:  global
        .offset:         8
        .size:           8
        .value_kind:     global_buffer
      - .offset:         16
        .size:           4
        .value_kind:     hidden_block_count_x
      - .offset:         20
        .size:           4
        .value_kind:     hidden_block_count_y
      - .offset:         24
        .size:           4
        .value_kind:     hidden_block_count_z
      - .offset:         28
        .size:           2
        .value_kind:     hidden_group_size_x
      - .offset:         30
        .size:           2
        .value_kind:     hidden_group_size_y
      - .offset:         32
        .size:           2
        .value_kind:     hidden_group_size_z
      - .offset:         34
        .size:           2
        .value_kind:     hidden_remainder_x
      - .offset:         36
        .size:           2
        .value_kind:     hidden_remainder_y
      - .offset:         38
        .size:           2
        .value_kind:     hidden_remainder_z
      - .offset:         56
        .size:           8
        .value_kind:     hidden_global_offset_x
      - .offset:         64
        .size:           8
        .value_kind:     hidden_global_offset_y
      - .offset:         72
        .size:           8
        .value_kind:     hidden_global_offset_z
      - .offset:         80
        .size:           2
        .value_kind:     hidden_grid_dims
      - .offset:         96
        .size:           8
        .value_kind:     hidden_hostcall_buffer
    .group_segment_fixed_size: 0
    .kernarg_segment_align: 8
    .kernarg_segment_size: 272
    .language:       OpenCL C
    .language_version:
      - 2
      - 0
    .max_flat_workgroup_size: 1024
    .name:           _ZN19hipPrintfStressTest21kernel_dependent_calcEjPi
    .private_segment_fixed_size: 0
    .sgpr_count:     34
    .sgpr_spill_count: 0
    .symbol:         _ZN19hipPrintfStressTest21kernel_dependent_calcEjPi.kd
    .uniform_work_group_size: 1
    .uses_dynamic_stack: false
    .vgpr_count:     60
    .vgpr_spill_count: 0
    .wavefront_size: 32
  - .args:
      - .offset:         0
        .size:           4
        .value_kind:     by_value
      - .address_space:  global
        .offset:         8
        .size:           8
        .value_kind:     global_buffer
      - .offset:         16
        .size:           4
        .value_kind:     hidden_block_count_x
      - .offset:         20
        .size:           4
        .value_kind:     hidden_block_count_y
      - .offset:         24
        .size:           4
        .value_kind:     hidden_block_count_z
      - .offset:         28
        .size:           2
        .value_kind:     hidden_group_size_x
      - .offset:         30
        .size:           2
        .value_kind:     hidden_group_size_y
      - .offset:         32
        .size:           2
        .value_kind:     hidden_group_size_z
      - .offset:         34
        .size:           2
        .value_kind:     hidden_remainder_x
      - .offset:         36
        .size:           2
        .value_kind:     hidden_remainder_y
      - .offset:         38
        .size:           2
        .value_kind:     hidden_remainder_z
      - .offset:         56
        .size:           8
        .value_kind:     hidden_global_offset_x
      - .offset:         64
        .size:           8
        .value_kind:     hidden_global_offset_y
      - .offset:         72
        .size:           8
        .value_kind:     hidden_global_offset_z
      - .offset:         80
        .size:           2
        .value_kind:     hidden_grid_dims
      - .offset:         96
        .size:           8
        .value_kind:     hidden_hostcall_buffer
    .group_segment_fixed_size: 0
    .kernarg_segment_align: 8
    .kernarg_segment_size: 272
    .language:       OpenCL C
    .language_version:
      - 2
      - 0
    .max_flat_workgroup_size: 1024
    .name:           _ZN19hipPrintfStressTest28kernel_dependent_calc_atomicEjPi
    .private_segment_fixed_size: 20
    .sgpr_count:     34
    .sgpr_spill_count: 0
    .symbol:         _ZN19hipPrintfStressTest28kernel_dependent_calc_atomicEjPi.kd
    .uniform_work_group_size: 1
    .uses_dynamic_stack: false
    .vgpr_count:     62
    .vgpr_spill_count: 0
    .wavefront_size: 32
  - .args:
      - .offset:         0
        .size:           4
        .value_kind:     by_value
      - .offset:         4
        .size:           4
        .value_kind:     by_value
      - .offset:         8
        .size:           4
        .value_kind:     hidden_block_count_x
      - .offset:         12
        .size:           4
        .value_kind:     hidden_block_count_y
      - .offset:         16
        .size:           4
        .value_kind:     hidden_block_count_z
      - .offset:         20
        .size:           2
        .value_kind:     hidden_group_size_x
      - .offset:         22
        .size:           2
        .value_kind:     hidden_group_size_y
      - .offset:         24
        .size:           2
        .value_kind:     hidden_group_size_z
      - .offset:         26
        .size:           2
        .value_kind:     hidden_remainder_x
      - .offset:         28
        .size:           2
        .value_kind:     hidden_remainder_y
      - .offset:         30
        .size:           2
        .value_kind:     hidden_remainder_z
      - .offset:         48
        .size:           8
        .value_kind:     hidden_global_offset_x
      - .offset:         56
        .size:           8
        .value_kind:     hidden_global_offset_y
      - .offset:         64
        .size:           8
        .value_kind:     hidden_global_offset_z
      - .offset:         72
        .size:           2
        .value_kind:     hidden_grid_dims
      - .offset:         88
        .size:           8
        .value_kind:     hidden_hostcall_buffer
    .group_segment_fixed_size: 0
    .kernarg_segment_align: 8
    .kernarg_segment_size: 264
    .language:       OpenCL C
    .language_version:
      - 2
      - 0
    .max_flat_workgroup_size: 1024
    .name:           _ZN19hipPrintfStressTest26kernel_decimal_calculationEji
    .private_segment_fixed_size: 0
    .sgpr_count:     38
    .sgpr_spill_count: 0
    .symbol:         _ZN19hipPrintfStressTest26kernel_decimal_calculationEji.kd
    .uniform_work_group_size: 1
    .uses_dynamic_stack: false
    .vgpr_count:     50
    .vgpr_spill_count: 0
    .wavefront_size: 32
  - .args:
      - .offset:         0
        .size:           4
        .value_kind:     hidden_block_count_x
      - .offset:         4
        .size:           4
        .value_kind:     hidden_block_count_y
      - .offset:         8
        .size:           4
        .value_kind:     hidden_block_count_z
      - .offset:         12
        .size:           2
        .value_kind:     hidden_group_size_x
      - .offset:         14
        .size:           2
        .value_kind:     hidden_group_size_y
      - .offset:         16
        .size:           2
        .value_kind:     hidden_group_size_z
      - .offset:         18
        .size:           2
        .value_kind:     hidden_remainder_x
      - .offset:         20
        .size:           2
        .value_kind:     hidden_remainder_y
      - .offset:         22
        .size:           2
        .value_kind:     hidden_remainder_z
      - .offset:         40
        .size:           8
        .value_kind:     hidden_global_offset_x
      - .offset:         48
        .size:           8
        .value_kind:     hidden_global_offset_y
      - .offset:         56
        .size:           8
        .value_kind:     hidden_global_offset_z
      - .offset:         64
        .size:           2
        .value_kind:     hidden_grid_dims
      - .offset:         80
        .size:           8
        .value_kind:     hidden_hostcall_buffer
    .group_segment_fixed_size: 4
    .kernarg_segment_align: 8
    .kernarg_segment_size: 256
    .language:       OpenCL C
    .language_version:
      - 2
      - 0
    .max_flat_workgroup_size: 1024
    .name:           _ZN19hipPrintfStressTest17kernel_shared_memEv
    .private_segment_fixed_size: 0
    .sgpr_count:     20
    .sgpr_spill_count: 0
    .symbol:         _ZN19hipPrintfStressTest17kernel_shared_memEv.kd
    .uniform_work_group_size: 1
    .uses_dynamic_stack: false
    .vgpr_count:     35
    .vgpr_spill_count: 0
    .wavefront_size: 32
  - .args:
      - .offset:         0
        .size:           4
        .value_kind:     hidden_block_count_x
      - .offset:         4
        .size:           4
        .value_kind:     hidden_block_count_y
      - .offset:         8
        .size:           4
        .value_kind:     hidden_block_count_z
      - .offset:         12
        .size:           2
        .value_kind:     hidden_group_size_x
      - .offset:         14
        .size:           2
        .value_kind:     hidden_group_size_y
      - .offset:         16
        .size:           2
        .value_kind:     hidden_group_size_z
      - .offset:         18
        .size:           2
        .value_kind:     hidden_remainder_x
      - .offset:         20
        .size:           2
        .value_kind:     hidden_remainder_y
      - .offset:         22
        .size:           2
        .value_kind:     hidden_remainder_z
      - .offset:         40
        .size:           8
        .value_kind:     hidden_global_offset_x
      - .offset:         48
        .size:           8
        .value_kind:     hidden_global_offset_y
      - .offset:         56
        .size:           8
        .value_kind:     hidden_global_offset_z
      - .offset:         64
        .size:           2
        .value_kind:     hidden_grid_dims
      - .offset:         80
        .size:           8
        .value_kind:     hidden_hostcall_buffer
    .group_segment_fixed_size: 0
    .kernarg_segment_align: 8
    .kernarg_segment_size: 256
    .language:       OpenCL C
    .language_version:
      - 2
      - 0
    .max_flat_workgroup_size: 1024
    .name:           _ZN19hipPrintfStressTest26kernel_synchronized_printfEv
    .private_segment_fixed_size: 0
    .sgpr_count:     26
    .sgpr_spill_count: 0
    .symbol:         _ZN19hipPrintfStressTest26kernel_synchronized_printfEv.kd
    .uniform_work_group_size: 1
    .uses_dynamic_stack: false
    .vgpr_count:     34
    .vgpr_spill_count: 0
    .wavefront_size: 32
amdhsa.target:   amdgcn-amd-amdhsa--gfx1250
amdhsa.version:
  - 1
  - 2
...

	.end_amdgpu_metadata
